;; amdgpu-corpus repo=ROCm/rocFFT kind=compiled arch=gfx1030 opt=O3
	.text
	.amdgcn_target "amdgcn-amd-amdhsa--gfx1030"
	.amdhsa_code_object_version 6
	.protected	bluestein_single_fwd_len867_dim1_dp_op_CI_CI ; -- Begin function bluestein_single_fwd_len867_dim1_dp_op_CI_CI
	.globl	bluestein_single_fwd_len867_dim1_dp_op_CI_CI
	.p2align	8
	.type	bluestein_single_fwd_len867_dim1_dp_op_CI_CI,@function
bluestein_single_fwd_len867_dim1_dp_op_CI_CI: ; @bluestein_single_fwd_len867_dim1_dp_op_CI_CI
; %bb.0:
	s_load_dwordx4 s[12:15], s[4:5], 0x28
	v_mul_u32_u24_e32 v1, 0x506, v0
	s_mov_b64 s[62:63], s[2:3]
	s_mov_b64 s[60:61], s[0:1]
	v_mov_b32_e32 v3, 0
	s_add_u32 s60, s60, s7
	v_lshrrev_b32_e32 v1, 16, v1
	s_addc_u32 s61, s61, 0
	s_mov_b32 s0, exec_lo
	v_add_nc_u32_e32 v2, s6, v1
	s_waitcnt lgkmcnt(0)
	v_cmpx_gt_u64_e64 s[12:13], v[2:3]
	s_cbranch_execz .LBB0_10
; %bb.1:
	s_clause 0x2
	s_load_dwordx4 s[0:3], s[4:5], 0x0
	s_load_dwordx4 s[8:11], s[4:5], 0x18
	s_load_dwordx2 s[12:13], s[4:5], 0x38
	v_mov_b32_e32 v3, v2
	v_mul_lo_u16 v1, v1, 51
	s_mov_b32 s42, 0x5d8e7cdc
	s_mov_b32 s46, 0x2a9d6da3
	;; [unrolled: 1-line block ×4, first 2 shown]
	v_sub_nc_u16 v214, v0, v1
	s_mov_b32 s22, 0x6c9a05f6
	s_mov_b32 s30, 0x4363dd80
	;; [unrolled: 1-line block ×4, first 2 shown]
	v_and_b32_e32 v6, 0xffff, v214
	s_mov_b32 s47, 0xbfe58eea
	s_mov_b32 s53, 0xbfeca52d
	;; [unrolled: 1-line block ×4, first 2 shown]
	v_lshlrev_b32_e32 v255, 4, v6
	s_mov_b32 s31, 0xbfe0d888
	s_waitcnt lgkmcnt(0)
	s_load_dwordx4 s[4:7], s[10:11], 0x0
	s_load_dwordx4 s[8:11], s[8:9], 0x0
	buffer_store_dword v3, off, s[60:63], 0 offset:4 ; 4-byte Folded Spill
	buffer_store_dword v4, off, s[60:63], 0 offset:8 ; 4-byte Folded Spill
	buffer_store_dword v6, off, s[60:63], 0 ; 4-byte Folded Spill
	global_load_dwordx4 v[10:13], v255, s[0:1]
	s_mov_b32 s41, 0xbfc7851a
	s_mov_b32 s34, 0x370991
	;; [unrolled: 1-line block ×16, first 2 shown]
	s_waitcnt lgkmcnt(0)
	v_mad_u64_u32 v[0:1], null, s10, v2, 0
	v_add_co_u32 v216, s10, s0, v255
	v_add_co_ci_u32_e64 v217, null, s1, 0, s10
	s_mul_hi_u32 s10, s8, 0x330
	s_mov_b32 s37, 0x3fd71e95
	v_mad_u64_u32 v[1:2], null, s11, v2, v[1:2]
	v_mad_u64_u32 v[2:3], null, s8, v6, 0
	s_mulk_i32 s8, 0x330
	s_mov_b32 s36, s42
	s_mov_b32 s57, 0x3fc7851a
	;; [unrolled: 1-line block ×3, first 2 shown]
	v_lshlrev_b64 v[0:1], 4, v[0:1]
	s_mov_b32 s29, 0x3fe58eea
	s_mov_b32 s28, s46
	;; [unrolled: 1-line block ×6, first 2 shown]
	v_mad_u64_u32 v[3:4], null, s9, v6, v[3:4]
	v_add_co_u32 v4, vcc_lo, s14, v0
	v_add_co_ci_u32_e32 v5, vcc_lo, s15, v1, vcc_lo
	s_mulk_i32 s9, 0x330
	s_mov_b32 s14, 0x2b2883cd
	v_lshlrev_b64 v[0:1], 4, v[2:3]
	s_add_i32 s9, s10, s9
	s_mov_b32 s10, 0x923c349f
	s_mov_b32 s11, 0xbfeec746
	;; [unrolled: 1-line block ×4, first 2 shown]
	v_add_co_u32 v8, vcc_lo, v4, v0
	v_add_co_ci_u32_e32 v9, vcc_lo, v5, v1, vcc_lo
	global_load_dwordx4 v[0:3], v[8:9], off
	s_waitcnt vmcnt(0)
	v_mul_f64 v[4:5], v[2:3], v[12:13]
	v_fma_f64 v[4:5], v[0:1], v[10:11], v[4:5]
	v_mul_f64 v[0:1], v[0:1], v[12:13]
	buffer_store_dword v10, off, s[60:63], 0 offset:12 ; 4-byte Folded Spill
	buffer_store_dword v11, off, s[60:63], 0 offset:16 ; 4-byte Folded Spill
	;; [unrolled: 1-line block ×4, first 2 shown]
	v_fma_f64 v[6:7], v[2:3], v[10:11], -v[0:1]
	ds_write_b128 v255, v[4:7]
	v_add_co_u32 v4, vcc_lo, v8, s8
	v_add_co_ci_u32_e32 v5, vcc_lo, s9, v9, vcc_lo
	global_load_dwordx4 v[0:3], v[4:5], off
	global_load_dwordx4 v[10:13], v255, s[0:1] offset:816
	v_add_co_u32 v4, vcc_lo, v4, s8
	v_add_co_ci_u32_e32 v5, vcc_lo, s9, v5, vcc_lo
	s_waitcnt vmcnt(0)
	v_mul_f64 v[6:7], v[2:3], v[12:13]
	v_fma_f64 v[8:9], v[0:1], v[10:11], v[6:7]
	v_mul_f64 v[0:1], v[0:1], v[12:13]
	buffer_store_dword v10, off, s[60:63], 0 offset:28 ; 4-byte Folded Spill
	buffer_store_dword v11, off, s[60:63], 0 offset:32 ; 4-byte Folded Spill
	buffer_store_dword v12, off, s[60:63], 0 offset:36 ; 4-byte Folded Spill
	buffer_store_dword v13, off, s[60:63], 0 offset:40 ; 4-byte Folded Spill
	v_fma_f64 v[10:11], v[2:3], v[10:11], -v[0:1]
	ds_write_b128 v255, v[8:11] offset:816
	global_load_dwordx4 v[0:3], v[4:5], off
	global_load_dwordx4 v[8:11], v255, s[0:1] offset:1632
	v_add_co_u32 v4, vcc_lo, v4, s8
	v_add_co_ci_u32_e32 v5, vcc_lo, s9, v5, vcc_lo
	s_mov_b32 s0, 0x3259b75e
	s_mov_b32 s1, 0x3fb79ee6
	s_waitcnt vmcnt(0)
	v_mul_f64 v[6:7], v[2:3], v[10:11]
	v_fma_f64 v[12:13], v[0:1], v[8:9], v[6:7]
	v_mul_f64 v[0:1], v[0:1], v[10:11]
	buffer_store_dword v8, off, s[60:63], 0 offset:44 ; 4-byte Folded Spill
	buffer_store_dword v9, off, s[60:63], 0 offset:48 ; 4-byte Folded Spill
	buffer_store_dword v10, off, s[60:63], 0 offset:52 ; 4-byte Folded Spill
	buffer_store_dword v11, off, s[60:63], 0 offset:56 ; 4-byte Folded Spill
	v_add_co_u32 v6, vcc_lo, 0x800, v216
	v_add_co_ci_u32_e32 v7, vcc_lo, 0, v217, vcc_lo
	v_fma_f64 v[14:15], v[2:3], v[8:9], -v[0:1]
	global_load_dwordx4 v[0:3], v[4:5], off
	v_add_co_u32 v4, vcc_lo, v4, s8
	v_add_co_ci_u32_e32 v5, vcc_lo, s9, v5, vcc_lo
	ds_write_b128 v255, v[12:15] offset:1632
	global_load_dwordx4 v[10:13], v[6:7], off offset:400
	s_waitcnt vmcnt(0)
	v_mul_f64 v[8:9], v[2:3], v[12:13]
	v_fma_f64 v[16:17], v[0:1], v[10:11], v[8:9]
	v_mul_f64 v[0:1], v[0:1], v[12:13]
	buffer_store_dword v10, off, s[60:63], 0 offset:60 ; 4-byte Folded Spill
	buffer_store_dword v11, off, s[60:63], 0 offset:64 ; 4-byte Folded Spill
	;; [unrolled: 1-line block ×4, first 2 shown]
	v_fma_f64 v[18:19], v[2:3], v[10:11], -v[0:1]
	ds_write_b128 v255, v[16:19] offset:2448
	global_load_dwordx4 v[0:3], v[4:5], off
	global_load_dwordx4 v[10:13], v[6:7], off offset:1216
	v_add_co_u32 v4, vcc_lo, v4, s8
	v_add_co_ci_u32_e32 v5, vcc_lo, s9, v5, vcc_lo
	s_waitcnt vmcnt(0)
	v_mul_f64 v[8:9], v[2:3], v[12:13]
	v_fma_f64 v[20:21], v[0:1], v[10:11], v[8:9]
	v_mul_f64 v[0:1], v[0:1], v[12:13]
	buffer_store_dword v10, off, s[60:63], 0 offset:76 ; 4-byte Folded Spill
	buffer_store_dword v11, off, s[60:63], 0 offset:80 ; 4-byte Folded Spill
	buffer_store_dword v12, off, s[60:63], 0 offset:84 ; 4-byte Folded Spill
	buffer_store_dword v13, off, s[60:63], 0 offset:88 ; 4-byte Folded Spill
	v_fma_f64 v[22:23], v[2:3], v[10:11], -v[0:1]
	ds_write_b128 v255, v[20:23] offset:3264
	global_load_dwordx4 v[0:3], v[4:5], off
	global_load_dwordx4 v[8:11], v[6:7], off offset:2032
	v_add_co_u32 v4, vcc_lo, v4, s8
	v_add_co_ci_u32_e32 v5, vcc_lo, s9, v5, vcc_lo
	s_waitcnt vmcnt(0)
	v_mul_f64 v[6:7], v[2:3], v[10:11]
	v_fma_f64 v[24:25], v[0:1], v[8:9], v[6:7]
	v_mul_f64 v[0:1], v[0:1], v[10:11]
	buffer_store_dword v8, off, s[60:63], 0 offset:92 ; 4-byte Folded Spill
	buffer_store_dword v9, off, s[60:63], 0 offset:96 ; 4-byte Folded Spill
	;; [unrolled: 1-line block ×4, first 2 shown]
	v_add_co_u32 v6, vcc_lo, 0x1000, v216
	v_add_co_ci_u32_e32 v7, vcc_lo, 0, v217, vcc_lo
	global_load_dwordx4 v[10:13], v[6:7], off offset:800
	v_fma_f64 v[26:27], v[2:3], v[8:9], -v[0:1]
	global_load_dwordx4 v[0:3], v[4:5], off
	v_add_co_u32 v4, vcc_lo, v4, s8
	v_add_co_ci_u32_e32 v5, vcc_lo, s9, v5, vcc_lo
	ds_write_b128 v255, v[24:27] offset:4080
	s_waitcnt vmcnt(0)
	v_mul_f64 v[8:9], v[2:3], v[12:13]
	v_fma_f64 v[24:25], v[0:1], v[10:11], v[8:9]
	v_mul_f64 v[0:1], v[0:1], v[12:13]
	buffer_store_dword v10, off, s[60:63], 0 offset:140 ; 4-byte Folded Spill
	buffer_store_dword v11, off, s[60:63], 0 offset:144 ; 4-byte Folded Spill
	;; [unrolled: 1-line block ×4, first 2 shown]
	v_fma_f64 v[26:27], v[2:3], v[10:11], -v[0:1]
	ds_write_b128 v255, v[24:27] offset:4896
	global_load_dwordx4 v[0:3], v[4:5], off
	global_load_dwordx4 v[8:11], v[6:7], off offset:1616
	v_add_co_u32 v4, vcc_lo, v4, s8
	v_add_co_ci_u32_e32 v5, vcc_lo, s9, v5, vcc_lo
	s_waitcnt vmcnt(0)
	v_mul_f64 v[6:7], v[2:3], v[10:11]
	v_fma_f64 v[24:25], v[0:1], v[8:9], v[6:7]
	v_mul_f64 v[0:1], v[0:1], v[10:11]
	buffer_store_dword v8, off, s[60:63], 0 offset:156 ; 4-byte Folded Spill
	buffer_store_dword v9, off, s[60:63], 0 offset:160 ; 4-byte Folded Spill
	;; [unrolled: 1-line block ×4, first 2 shown]
	v_add_co_u32 v6, vcc_lo, 0x1800, v216
	v_add_co_ci_u32_e32 v7, vcc_lo, 0, v217, vcc_lo
	global_load_dwordx4 v[10:13], v[6:7], off offset:384
	v_fma_f64 v[26:27], v[2:3], v[8:9], -v[0:1]
	global_load_dwordx4 v[0:3], v[4:5], off
	v_add_co_u32 v4, vcc_lo, v4, s8
	v_add_co_ci_u32_e32 v5, vcc_lo, s9, v5, vcc_lo
	ds_write_b128 v255, v[24:27] offset:5712
	s_waitcnt vmcnt(0)
	v_mul_f64 v[8:9], v[2:3], v[12:13]
	v_fma_f64 v[24:25], v[0:1], v[10:11], v[8:9]
	v_mul_f64 v[0:1], v[0:1], v[12:13]
	buffer_store_dword v10, off, s[60:63], 0 offset:204 ; 4-byte Folded Spill
	buffer_store_dword v11, off, s[60:63], 0 offset:208 ; 4-byte Folded Spill
	;; [unrolled: 1-line block ×4, first 2 shown]
	v_fma_f64 v[26:27], v[2:3], v[10:11], -v[0:1]
	ds_write_b128 v255, v[24:27] offset:6528
	global_load_dwordx4 v[0:3], v[4:5], off
	global_load_dwordx4 v[10:13], v[6:7], off offset:1200
	v_add_co_u32 v4, vcc_lo, v4, s8
	v_add_co_ci_u32_e32 v5, vcc_lo, s9, v5, vcc_lo
	s_waitcnt vmcnt(0)
	v_mul_f64 v[8:9], v[2:3], v[12:13]
	v_fma_f64 v[28:29], v[0:1], v[10:11], v[8:9]
	v_mul_f64 v[0:1], v[0:1], v[12:13]
	buffer_store_dword v10, off, s[60:63], 0 offset:108 ; 4-byte Folded Spill
	buffer_store_dword v11, off, s[60:63], 0 offset:112 ; 4-byte Folded Spill
	;; [unrolled: 1-line block ×4, first 2 shown]
	v_fma_f64 v[30:31], v[2:3], v[10:11], -v[0:1]
	ds_write_b128 v255, v[28:31] offset:7344
	global_load_dwordx4 v[0:3], v[4:5], off
	global_load_dwordx4 v[8:11], v[6:7], off offset:2016
	v_add_co_u32 v4, vcc_lo, v4, s8
	v_add_co_ci_u32_e32 v5, vcc_lo, s9, v5, vcc_lo
	s_waitcnt vmcnt(0)
	v_mul_f64 v[6:7], v[2:3], v[10:11]
	v_fma_f64 v[40:41], v[0:1], v[8:9], v[6:7]
	v_mul_f64 v[0:1], v[0:1], v[10:11]
	buffer_store_dword v8, off, s[60:63], 0 offset:124 ; 4-byte Folded Spill
	buffer_store_dword v9, off, s[60:63], 0 offset:128 ; 4-byte Folded Spill
	;; [unrolled: 1-line block ×4, first 2 shown]
	v_add_co_u32 v6, vcc_lo, 0x2000, v216
	v_add_co_ci_u32_e32 v7, vcc_lo, 0, v217, vcc_lo
	global_load_dwordx4 v[10:13], v[6:7], off offset:784
	v_fma_f64 v[42:43], v[2:3], v[8:9], -v[0:1]
	global_load_dwordx4 v[0:3], v[4:5], off
	v_add_co_u32 v4, vcc_lo, v4, s8
	v_add_co_ci_u32_e32 v5, vcc_lo, s9, v5, vcc_lo
	ds_write_b128 v255, v[40:43] offset:8160
	s_waitcnt vmcnt(0)
	v_mul_f64 v[8:9], v[2:3], v[12:13]
	v_fma_f64 v[44:45], v[0:1], v[10:11], v[8:9]
	v_mul_f64 v[0:1], v[0:1], v[12:13]
	buffer_store_dword v10, off, s[60:63], 0 offset:172 ; 4-byte Folded Spill
	buffer_store_dword v11, off, s[60:63], 0 offset:176 ; 4-byte Folded Spill
	;; [unrolled: 1-line block ×4, first 2 shown]
	v_fma_f64 v[46:47], v[2:3], v[10:11], -v[0:1]
	ds_write_b128 v255, v[44:47] offset:8976
	global_load_dwordx4 v[0:3], v[4:5], off
	global_load_dwordx4 v[8:11], v[6:7], off offset:1600
	v_add_co_u32 v4, vcc_lo, v4, s8
	v_add_co_ci_u32_e32 v5, vcc_lo, s9, v5, vcc_lo
	s_waitcnt vmcnt(0)
	v_mul_f64 v[6:7], v[2:3], v[10:11]
	v_fma_f64 v[52:53], v[0:1], v[8:9], v[6:7]
	v_mul_f64 v[0:1], v[0:1], v[10:11]
	buffer_store_dword v8, off, s[60:63], 0 offset:188 ; 4-byte Folded Spill
	buffer_store_dword v9, off, s[60:63], 0 offset:192 ; 4-byte Folded Spill
	;; [unrolled: 1-line block ×4, first 2 shown]
	v_add_co_u32 v6, vcc_lo, 0x2800, v216
	v_add_co_ci_u32_e32 v7, vcc_lo, 0, v217, vcc_lo
	global_load_dwordx4 v[10:13], v[6:7], off offset:368
	v_fma_f64 v[54:55], v[2:3], v[8:9], -v[0:1]
	global_load_dwordx4 v[0:3], v[4:5], off
	v_add_co_u32 v4, vcc_lo, v4, s8
	v_add_co_ci_u32_e32 v5, vcc_lo, s9, v5, vcc_lo
	ds_write_b128 v255, v[52:55] offset:9792
	s_waitcnt vmcnt(0)
	v_mul_f64 v[8:9], v[2:3], v[12:13]
	v_fma_f64 v[56:57], v[0:1], v[10:11], v[8:9]
	v_mul_f64 v[0:1], v[0:1], v[12:13]
	buffer_store_dword v10, off, s[60:63], 0 offset:220 ; 4-byte Folded Spill
	buffer_store_dword v11, off, s[60:63], 0 offset:224 ; 4-byte Folded Spill
	;; [unrolled: 1-line block ×4, first 2 shown]
	v_fma_f64 v[58:59], v[2:3], v[10:11], -v[0:1]
	ds_write_b128 v255, v[56:59] offset:10608
	global_load_dwordx4 v[0:3], v[4:5], off
	global_load_dwordx4 v[10:13], v[6:7], off offset:1184
	v_add_co_u32 v4, vcc_lo, v4, s8
	v_add_co_ci_u32_e32 v5, vcc_lo, s9, v5, vcc_lo
	s_waitcnt vmcnt(0)
	v_mul_f64 v[8:9], v[2:3], v[12:13]
	v_fma_f64 v[60:61], v[0:1], v[10:11], v[8:9]
	v_mul_f64 v[0:1], v[0:1], v[12:13]
	buffer_store_dword v10, off, s[60:63], 0 offset:236 ; 4-byte Folded Spill
	buffer_store_dword v11, off, s[60:63], 0 offset:240 ; 4-byte Folded Spill
	;; [unrolled: 1-line block ×4, first 2 shown]
	v_fma_f64 v[62:63], v[2:3], v[10:11], -v[0:1]
	ds_write_b128 v255, v[60:63] offset:11424
	global_load_dwordx4 v[0:3], v[4:5], off
	global_load_dwordx4 v[8:11], v[6:7], off offset:2000
	s_waitcnt vmcnt(0)
	v_mul_f64 v[6:7], v[2:3], v[10:11]
	v_fma_f64 v[64:65], v[0:1], v[8:9], v[6:7]
	v_mul_f64 v[0:1], v[0:1], v[10:11]
	buffer_store_dword v8, off, s[60:63], 0 offset:252 ; 4-byte Folded Spill
	buffer_store_dword v9, off, s[60:63], 0 offset:256 ; 4-byte Folded Spill
	;; [unrolled: 1-line block ×4, first 2 shown]
	v_fma_f64 v[66:67], v[2:3], v[8:9], -v[0:1]
	v_add_co_u32 v0, vcc_lo, v4, s8
	v_add_co_ci_u32_e32 v1, vcc_lo, s9, v5, vcc_lo
	v_add_co_u32 v212, vcc_lo, 0x3000, v216
	v_add_co_ci_u32_e32 v213, vcc_lo, 0, v217, vcc_lo
	global_load_dwordx4 v[0:3], v[0:1], off
	s_mov_b32 s8, 0xc61f0d01
	s_mov_b32 s9, 0xbfd183b1
	v_cmp_gt_u16_e32 vcc_lo, 34, v214
	ds_write_b128 v255, v[64:67] offset:12240
	global_load_dwordx4 v[64:67], v[212:213], off offset:768
	s_waitcnt vmcnt(0)
	v_mul_f64 v[4:5], v[2:3], v[66:67]
	v_fma_f64 v[68:69], v[0:1], v[64:65], v[4:5]
	v_mul_f64 v[0:1], v[0:1], v[66:67]
	v_fma_f64 v[70:71], v[2:3], v[64:65], -v[0:1]
	ds_write_b128 v255, v[68:71] offset:13056
	s_waitcnt lgkmcnt(0)
	s_waitcnt_vscnt null, 0x0
	s_barrier
	buffer_gl0_inv
	ds_read_b128 v[0:3], v255
	ds_read_b128 v[112:115], v255 offset:816
	ds_read_b128 v[116:119], v255 offset:1632
	;; [unrolled: 1-line block ×16, first 2 shown]
	s_waitcnt lgkmcnt(0)
	s_barrier
	buffer_gl0_inv
	v_add_f64 v[4:5], v[0:1], v[112:113]
	v_add_f64 v[6:7], v[2:3], v[114:115]
	v_add_f64 v[10:11], v[114:115], -v[134:135]
	v_add_f64 v[8:9], v[112:113], -v[132:133]
	v_add_f64 v[4:5], v[4:5], v[116:117]
	v_add_f64 v[6:7], v[6:7], v[118:119]
	v_mul_f64 v[136:137], v[10:11], s[46:47]
	v_mul_f64 v[144:145], v[10:11], s[52:53]
	;; [unrolled: 1-line block ×7, first 2 shown]
	v_add_f64 v[4:5], v[4:5], v[120:121]
	v_add_f64 v[6:7], v[6:7], v[122:123]
	v_mul_f64 v[148:149], v[8:9], s[52:53]
	v_mul_f64 v[156:157], v[8:9], s[44:45]
	;; [unrolled: 1-line block ×5, first 2 shown]
	v_add_f64 v[4:5], v[4:5], v[104:105]
	v_add_f64 v[6:7], v[6:7], v[106:107]
	;; [unrolled: 1-line block ×26, first 2 shown]
	v_mul_f64 v[112:113], v[10:11], s[42:43]
	v_mul_f64 v[10:11], v[10:11], s[40:41]
	v_add_f64 v[70:71], v[6:7], v[134:135]
	v_add_f64 v[6:7], v[114:115], v[134:135]
	v_mul_f64 v[132:133], v[8:9], s[42:43]
	v_mul_f64 v[8:9], v[8:9], s[40:41]
	v_fma_f64 v[138:139], v[4:5], s[24:25], -v[136:137]
	v_fma_f64 v[114:115], v[4:5], s[34:35], -v[112:113]
	v_fma_f64 v[112:113], v[4:5], s[34:35], v[112:113]
	v_fma_f64 v[136:137], v[4:5], s[24:25], v[136:137]
	v_fma_f64 v[146:147], v[4:5], s[14:15], -v[144:145]
	v_fma_f64 v[144:145], v[4:5], s[14:15], v[144:145]
	v_fma_f64 v[154:155], v[4:5], s[0:1], -v[152:153]
	;; [unrolled: 2-line block ×6, first 2 shown]
	v_fma_f64 v[4:5], v[4:5], s[38:39], v[10:11]
	v_fma_f64 v[134:135], v[6:7], s[34:35], v[132:133]
	v_fma_f64 v[132:133], v[6:7], s[34:35], -v[132:133]
	v_fma_f64 v[142:143], v[6:7], s[24:25], v[140:141]
	v_fma_f64 v[140:141], v[6:7], s[24:25], -v[140:141]
	;; [unrolled: 2-line block ×3, first 2 shown]
	v_add_f64 v[138:139], v[0:1], v[138:139]
	v_add_f64 v[114:115], v[0:1], v[114:115]
	;; [unrolled: 1-line block ×7, first 2 shown]
	v_fma_f64 v[158:159], v[6:7], s[0:1], v[156:157]
	v_add_f64 v[152:153], v[0:1], v[152:153]
	v_fma_f64 v[156:157], v[6:7], s[0:1], -v[156:157]
	v_add_f64 v[162:163], v[0:1], v[162:163]
	v_fma_f64 v[166:167], v[6:7], s[8:9], v[164:165]
	v_add_f64 v[160:161], v[0:1], v[160:161]
	v_fma_f64 v[164:165], v[6:7], s[8:9], -v[164:165]
	v_add_f64 v[170:171], v[0:1], v[170:171]
	;; [unrolled: 4-line block ×4, first 2 shown]
	v_fma_f64 v[186:187], v[6:7], s[38:39], v[8:9]
	v_add_f64 v[0:1], v[0:1], v[4:5]
	v_fma_f64 v[4:5], v[6:7], s[38:39], -v[8:9]
	v_add_f64 v[10:11], v[118:119], -v[130:131]
	v_add_f64 v[134:135], v[2:3], v[134:135]
	v_add_f64 v[132:133], v[2:3], v[132:133]
	;; [unrolled: 1-line block ×11, first 2 shown]
	v_add_f64 v[8:9], v[116:117], -v[128:129]
	v_add_f64 v[172:173], v[2:3], v[172:173]
	v_add_f64 v[6:7], v[118:119], v[130:131]
	;; [unrolled: 1-line block ×7, first 2 shown]
	v_mul_f64 v[116:117], v[10:11], s[46:47]
	v_fma_f64 v[118:119], v[4:5], s[24:25], -v[116:117]
	v_fma_f64 v[116:117], v[4:5], s[24:25], v[116:117]
	v_add_f64 v[114:115], v[118:119], v[114:115]
	v_mul_f64 v[118:119], v[8:9], s[46:47]
	v_add_f64 v[112:113], v[116:117], v[112:113]
	v_fma_f64 v[128:129], v[6:7], s[24:25], v[118:119]
	v_fma_f64 v[116:117], v[6:7], s[24:25], -v[118:119]
	v_mul_f64 v[118:119], v[10:11], s[44:45]
	v_add_f64 v[128:129], v[128:129], v[134:135]
	v_add_f64 v[116:117], v[116:117], v[132:133]
	v_fma_f64 v[130:131], v[4:5], s[0:1], -v[118:119]
	v_fma_f64 v[118:119], v[4:5], s[0:1], v[118:119]
	v_mul_f64 v[132:133], v[8:9], s[44:45]
	v_add_f64 v[130:131], v[130:131], v[138:139]
	v_add_f64 v[118:119], v[118:119], v[136:137]
	v_mul_f64 v[136:137], v[10:11], s[22:23]
	v_fma_f64 v[134:135], v[6:7], s[0:1], v[132:133]
	v_fma_f64 v[132:133], v[6:7], s[0:1], -v[132:133]
	v_fma_f64 v[138:139], v[4:5], s[20:21], -v[136:137]
	v_fma_f64 v[136:137], v[4:5], s[20:21], v[136:137]
	v_add_f64 v[132:133], v[132:133], v[140:141]
	v_mul_f64 v[140:141], v[8:9], s[22:23]
	v_add_f64 v[134:135], v[134:135], v[142:143]
	v_add_f64 v[138:139], v[138:139], v[146:147]
	v_add_f64 v[136:137], v[136:137], v[144:145]
	v_mul_f64 v[144:145], v[10:11], s[40:41]
	v_fma_f64 v[142:143], v[6:7], s[20:21], v[140:141]
	v_fma_f64 v[140:141], v[6:7], s[20:21], -v[140:141]
	v_fma_f64 v[146:147], v[4:5], s[38:39], -v[144:145]
	v_fma_f64 v[144:145], v[4:5], s[38:39], v[144:145]
	v_add_f64 v[140:141], v[140:141], v[148:149]
	v_mul_f64 v[148:149], v[8:9], s[40:41]
	v_add_f64 v[142:143], v[142:143], v[150:151]
	;; [unrolled: 10-line block ×4, first 2 shown]
	v_add_f64 v[162:163], v[162:163], v[170:171]
	v_add_f64 v[160:161], v[160:161], v[168:169]
	v_mul_f64 v[168:169], v[10:11], s[18:19]
	v_fma_f64 v[166:167], v[6:7], s[8:9], v[164:165]
	v_fma_f64 v[164:165], v[6:7], s[8:9], -v[164:165]
	v_mul_f64 v[10:11], v[10:11], s[36:37]
	v_fma_f64 v[170:171], v[4:5], s[14:15], -v[168:169]
	v_fma_f64 v[168:169], v[4:5], s[14:15], v[168:169]
	v_add_f64 v[164:165], v[164:165], v[172:173]
	v_mul_f64 v[172:173], v[8:9], s[18:19]
	v_mul_f64 v[8:9], v[8:9], s[36:37]
	v_add_f64 v[166:167], v[166:167], v[174:175]
	v_add_f64 v[170:171], v[170:171], v[178:179]
	;; [unrolled: 1-line block ×3, first 2 shown]
	v_fma_f64 v[176:177], v[4:5], s[34:35], -v[10:11]
	v_fma_f64 v[4:5], v[4:5], s[34:35], v[10:11]
	v_add_f64 v[10:11], v[122:123], -v[126:127]
	v_fma_f64 v[178:179], v[6:7], s[34:35], v[8:9]
	v_fma_f64 v[174:175], v[6:7], s[14:15], v[172:173]
	v_fma_f64 v[172:173], v[6:7], s[14:15], -v[172:173]
	v_add_f64 v[176:177], v[176:177], v[184:185]
	v_add_f64 v[0:1], v[4:5], v[0:1]
	v_fma_f64 v[4:5], v[6:7], s[34:35], -v[8:9]
	v_add_f64 v[8:9], v[120:121], -v[124:125]
	v_add_f64 v[6:7], v[122:123], v[126:127]
	v_add_f64 v[174:175], v[174:175], v[182:183]
	;; [unrolled: 1-line block ×6, first 2 shown]
	v_mul_f64 v[120:121], v[10:11], s[52:53]
	v_mul_f64 v[126:127], v[8:9], s[22:23]
	v_fma_f64 v[122:123], v[4:5], s[14:15], -v[120:121]
	v_fma_f64 v[120:121], v[4:5], s[14:15], v[120:121]
	v_add_f64 v[114:115], v[122:123], v[114:115]
	v_mul_f64 v[122:123], v[8:9], s[52:53]
	v_add_f64 v[112:113], v[120:121], v[112:113]
	v_fma_f64 v[120:121], v[6:7], s[14:15], -v[122:123]
	v_fma_f64 v[124:125], v[6:7], s[14:15], v[122:123]
	v_add_f64 v[116:117], v[120:121], v[116:117]
	v_mul_f64 v[120:121], v[10:11], s[22:23]
	v_add_f64 v[124:125], v[124:125], v[128:129]
	v_fma_f64 v[128:129], v[6:7], s[20:21], v[126:127]
	v_fma_f64 v[122:123], v[4:5], s[20:21], -v[120:121]
	v_fma_f64 v[120:121], v[4:5], s[20:21], v[120:121]
	v_add_f64 v[128:129], v[128:129], v[134:135]
	v_add_f64 v[122:123], v[122:123], v[130:131]
	;; [unrolled: 1-line block ×3, first 2 shown]
	v_fma_f64 v[120:121], v[6:7], s[20:21], -v[126:127]
	v_mul_f64 v[126:127], v[10:11], s[56:57]
	v_add_f64 v[120:121], v[120:121], v[132:133]
	v_fma_f64 v[130:131], v[4:5], s[38:39], -v[126:127]
	v_fma_f64 v[126:127], v[4:5], s[38:39], v[126:127]
	v_mul_f64 v[132:133], v[8:9], s[56:57]
	v_add_f64 v[130:131], v[130:131], v[138:139]
	v_add_f64 v[126:127], v[126:127], v[136:137]
	v_mul_f64 v[136:137], v[10:11], s[50:51]
	v_fma_f64 v[134:135], v[6:7], s[38:39], v[132:133]
	v_fma_f64 v[132:133], v[6:7], s[38:39], -v[132:133]
	v_fma_f64 v[138:139], v[4:5], s[8:9], -v[136:137]
	v_fma_f64 v[136:137], v[4:5], s[8:9], v[136:137]
	v_add_f64 v[132:133], v[132:133], v[140:141]
	v_mul_f64 v[140:141], v[8:9], s[50:51]
	v_add_f64 v[134:135], v[134:135], v[142:143]
	v_add_f64 v[138:139], v[138:139], v[146:147]
	v_add_f64 v[136:137], v[136:137], v[144:145]
	v_mul_f64 v[144:145], v[10:11], s[28:29]
	v_fma_f64 v[142:143], v[6:7], s[8:9], v[140:141]
	v_fma_f64 v[140:141], v[6:7], s[8:9], -v[140:141]
	v_fma_f64 v[146:147], v[4:5], s[24:25], -v[144:145]
	v_fma_f64 v[144:145], v[4:5], s[24:25], v[144:145]
	v_add_f64 v[140:141], v[140:141], v[148:149]
	v_mul_f64 v[148:149], v[8:9], s[28:29]
	v_add_f64 v[142:143], v[142:143], v[150:151]
	;; [unrolled: 10-line block ×3, first 2 shown]
	v_add_f64 v[154:155], v[154:155], v[162:163]
	v_add_f64 v[152:153], v[152:153], v[160:161]
	v_mul_f64 v[160:161], v[10:11], s[44:45]
	v_fma_f64 v[158:159], v[6:7], s[34:35], v[156:157]
	v_fma_f64 v[156:157], v[6:7], s[34:35], -v[156:157]
	v_mul_f64 v[10:11], v[10:11], s[30:31]
	v_fma_f64 v[162:163], v[4:5], s[0:1], -v[160:161]
	v_fma_f64 v[160:161], v[4:5], s[0:1], v[160:161]
	v_add_f64 v[156:157], v[156:157], v[164:165]
	v_mul_f64 v[164:165], v[8:9], s[44:45]
	v_mul_f64 v[8:9], v[8:9], s[30:31]
	v_add_f64 v[158:159], v[158:159], v[166:167]
	v_add_f64 v[162:163], v[162:163], v[170:171]
	;; [unrolled: 1-line block ×3, first 2 shown]
	v_fma_f64 v[168:169], v[4:5], s[26:27], -v[10:11]
	v_fma_f64 v[4:5], v[4:5], s[26:27], v[10:11]
	v_add_f64 v[10:11], v[106:107], -v[110:111]
	v_fma_f64 v[170:171], v[6:7], s[26:27], v[8:9]
	v_fma_f64 v[166:167], v[6:7], s[0:1], v[164:165]
	v_fma_f64 v[164:165], v[6:7], s[0:1], -v[164:165]
	v_add_f64 v[168:169], v[168:169], v[176:177]
	v_add_f64 v[0:1], v[4:5], v[0:1]
	v_fma_f64 v[4:5], v[6:7], s[26:27], -v[8:9]
	v_add_f64 v[8:9], v[104:105], -v[108:109]
	v_add_f64 v[6:7], v[106:107], v[110:111]
	v_add_f64 v[166:167], v[166:167], v[174:175]
	;; [unrolled: 1-line block ×6, first 2 shown]
	v_mul_f64 v[104:105], v[10:11], s[44:45]
	v_mul_f64 v[108:109], v[8:9], s[44:45]
	v_fma_f64 v[106:107], v[4:5], s[0:1], -v[104:105]
	v_fma_f64 v[104:105], v[4:5], s[0:1], v[104:105]
	v_fma_f64 v[110:111], v[6:7], s[0:1], v[108:109]
	v_fma_f64 v[108:109], v[6:7], s[0:1], -v[108:109]
	v_add_f64 v[106:107], v[106:107], v[114:115]
	v_add_f64 v[104:105], v[104:105], v[112:113]
	v_mul_f64 v[112:113], v[10:11], s[40:41]
	v_add_f64 v[108:109], v[108:109], v[116:117]
	v_mul_f64 v[116:117], v[8:9], s[40:41]
	;; [unrolled: 2-line block ×3, first 2 shown]
	v_fma_f64 v[114:115], v[4:5], s[38:39], -v[112:113]
	v_fma_f64 v[112:113], v[4:5], s[38:39], v[112:113]
	v_add_f64 v[114:115], v[114:115], v[122:123]
	v_fma_f64 v[122:123], v[6:7], s[38:39], v[116:117]
	v_add_f64 v[112:113], v[112:113], v[118:119]
	v_fma_f64 v[116:117], v[6:7], s[38:39], -v[116:117]
	v_mul_f64 v[118:119], v[10:11], s[50:51]
	v_add_f64 v[122:123], v[122:123], v[128:129]
	v_fma_f64 v[128:129], v[6:7], s[8:9], v[124:125]
	v_add_f64 v[116:117], v[116:117], v[120:121]
	v_fma_f64 v[120:121], v[4:5], s[8:9], -v[118:119]
	v_fma_f64 v[118:119], v[4:5], s[8:9], v[118:119]
	v_fma_f64 v[124:125], v[6:7], s[8:9], -v[124:125]
	v_add_f64 v[128:129], v[128:129], v[134:135]
	v_add_f64 v[120:121], v[120:121], v[130:131]
	;; [unrolled: 1-line block ×3, first 2 shown]
	v_mul_f64 v[126:127], v[10:11], s[36:37]
	v_add_f64 v[124:125], v[124:125], v[132:133]
	v_mul_f64 v[132:133], v[8:9], s[36:37]
	v_fma_f64 v[130:131], v[4:5], s[34:35], -v[126:127]
	v_fma_f64 v[126:127], v[4:5], s[34:35], v[126:127]
	v_fma_f64 v[134:135], v[6:7], s[34:35], v[132:133]
	v_fma_f64 v[132:133], v[6:7], s[34:35], -v[132:133]
	v_add_f64 v[130:131], v[130:131], v[138:139]
	v_add_f64 v[126:127], v[126:127], v[136:137]
	v_mul_f64 v[136:137], v[10:11], s[52:53]
	v_add_f64 v[132:133], v[132:133], v[140:141]
	v_mul_f64 v[140:141], v[8:9], s[52:53]
	v_add_f64 v[134:135], v[134:135], v[142:143]
	v_fma_f64 v[138:139], v[4:5], s[14:15], -v[136:137]
	v_fma_f64 v[136:137], v[4:5], s[14:15], v[136:137]
	v_fma_f64 v[142:143], v[6:7], s[14:15], v[140:141]
	v_fma_f64 v[140:141], v[6:7], s[14:15], -v[140:141]
	v_add_f64 v[138:139], v[138:139], v[146:147]
	v_add_f64 v[136:137], v[136:137], v[144:145]
	v_mul_f64 v[144:145], v[10:11], s[30:31]
	v_add_f64 v[140:141], v[140:141], v[148:149]
	v_mul_f64 v[148:149], v[8:9], s[30:31]
	v_add_f64 v[142:143], v[142:143], v[150:151]
	v_fma_f64 v[146:147], v[4:5], s[26:27], -v[144:145]
	v_fma_f64 v[144:145], v[4:5], s[26:27], v[144:145]
	v_fma_f64 v[150:151], v[6:7], s[26:27], v[148:149]
	v_fma_f64 v[148:149], v[6:7], s[26:27], -v[148:149]
	v_add_f64 v[146:147], v[146:147], v[154:155]
	v_add_f64 v[144:145], v[144:145], v[152:153]
	v_mul_f64 v[152:153], v[10:11], s[48:49]
	v_mul_f64 v[10:11], v[10:11], s[28:29]
	v_add_f64 v[148:149], v[148:149], v[156:157]
	v_mul_f64 v[156:157], v[8:9], s[48:49]
	v_mul_f64 v[8:9], v[8:9], s[28:29]
	v_add_f64 v[150:151], v[150:151], v[158:159]
	v_fma_f64 v[154:155], v[4:5], s[20:21], -v[152:153]
	v_fma_f64 v[152:153], v[4:5], s[20:21], v[152:153]
	v_fma_f64 v[158:159], v[6:7], s[20:21], v[156:157]
	v_fma_f64 v[156:157], v[6:7], s[20:21], -v[156:157]
	v_add_f64 v[154:155], v[154:155], v[162:163]
	v_add_f64 v[152:153], v[152:153], v[160:161]
	v_fma_f64 v[160:161], v[4:5], s[24:25], -v[10:11]
	v_fma_f64 v[4:5], v[4:5], s[24:25], v[10:11]
	v_add_f64 v[10:11], v[98:99], -v[102:103]
	v_fma_f64 v[162:163], v[6:7], s[24:25], v[8:9]
	v_add_f64 v[158:159], v[158:159], v[166:167]
	v_add_f64 v[156:157], v[156:157], v[164:165]
	v_add_f64 v[160:161], v[160:161], v[168:169]
	v_add_f64 v[0:1], v[4:5], v[0:1]
	v_fma_f64 v[4:5], v[6:7], s[24:25], -v[8:9]
	v_add_f64 v[8:9], v[96:97], -v[100:101]
	v_add_f64 v[6:7], v[98:99], v[102:103]
	v_add_f64 v[162:163], v[162:163], v[170:171]
	;; [unrolled: 1-line block ×4, first 2 shown]
	v_mul_f64 v[96:97], v[10:11], s[10:11]
	v_mul_f64 v[100:101], v[8:9], s[10:11]
	v_fma_f64 v[98:99], v[4:5], s[8:9], -v[96:97]
	v_fma_f64 v[96:97], v[4:5], s[8:9], v[96:97]
	v_fma_f64 v[102:103], v[6:7], s[8:9], v[100:101]
	v_fma_f64 v[100:101], v[6:7], s[8:9], -v[100:101]
	v_add_f64 v[98:99], v[98:99], v[106:107]
	v_add_f64 v[96:97], v[96:97], v[104:105]
	v_mul_f64 v[104:105], v[10:11], s[54:55]
	v_add_f64 v[100:101], v[100:101], v[108:109]
	v_mul_f64 v[108:109], v[8:9], s[54:55]
	v_add_f64 v[102:103], v[102:103], v[110:111]
	v_fma_f64 v[106:107], v[4:5], s[26:27], -v[104:105]
	v_fma_f64 v[104:105], v[4:5], s[26:27], v[104:105]
	v_fma_f64 v[110:111], v[6:7], s[26:27], v[108:109]
	v_fma_f64 v[108:109], v[6:7], s[26:27], -v[108:109]
	v_add_f64 v[106:107], v[106:107], v[114:115]
	v_add_f64 v[104:105], v[104:105], v[112:113]
	v_mul_f64 v[112:113], v[10:11], s[28:29]
	v_add_f64 v[108:109], v[108:109], v[116:117]
	v_mul_f64 v[116:117], v[8:9], s[28:29]
	v_add_f64 v[110:111], v[110:111], v[122:123]
	v_fma_f64 v[114:115], v[4:5], s[24:25], -v[112:113]
	v_fma_f64 v[112:113], v[4:5], s[24:25], v[112:113]
	v_add_f64 v[114:115], v[114:115], v[120:121]
	v_add_f64 v[112:113], v[112:113], v[118:119]
	v_mul_f64 v[118:119], v[10:11], s[52:53]
	v_fma_f64 v[120:121], v[6:7], s[24:25], v[116:117]
	v_fma_f64 v[116:117], v[6:7], s[24:25], -v[116:117]
	v_fma_f64 v[122:123], v[4:5], s[14:15], -v[118:119]
	v_fma_f64 v[118:119], v[4:5], s[14:15], v[118:119]
	v_add_f64 v[116:117], v[116:117], v[124:125]
	v_mul_f64 v[124:125], v[8:9], s[52:53]
	v_add_f64 v[120:121], v[120:121], v[128:129]
	v_add_f64 v[122:123], v[122:123], v[130:131]
	v_add_f64 v[118:119], v[118:119], v[126:127]
	v_mul_f64 v[126:127], v[10:11], s[40:41]
	v_fma_f64 v[128:129], v[6:7], s[14:15], v[124:125]
	v_fma_f64 v[124:125], v[6:7], s[14:15], -v[124:125]
	v_fma_f64 v[130:131], v[4:5], s[38:39], -v[126:127]
	v_fma_f64 v[126:127], v[4:5], s[38:39], v[126:127]
	v_add_f64 v[124:125], v[124:125], v[132:133]
	v_mul_f64 v[132:133], v[8:9], s[40:41]
	v_add_f64 v[128:129], v[128:129], v[134:135]
	;; [unrolled: 10-line block ×3, first 2 shown]
	v_add_f64 v[138:139], v[138:139], v[146:147]
	v_add_f64 v[136:137], v[136:137], v[144:145]
	v_mul_f64 v[144:145], v[10:11], s[42:43]
	v_fma_f64 v[142:143], v[6:7], s[0:1], v[140:141]
	v_fma_f64 v[140:141], v[6:7], s[0:1], -v[140:141]
	v_mul_f64 v[10:11], v[10:11], s[22:23]
	v_fma_f64 v[146:147], v[4:5], s[34:35], -v[144:145]
	v_fma_f64 v[144:145], v[4:5], s[34:35], v[144:145]
	v_add_f64 v[140:141], v[140:141], v[148:149]
	v_mul_f64 v[148:149], v[8:9], s[42:43]
	v_mul_f64 v[8:9], v[8:9], s[22:23]
	v_add_f64 v[142:143], v[142:143], v[150:151]
	v_add_f64 v[146:147], v[146:147], v[154:155]
	;; [unrolled: 1-line block ×3, first 2 shown]
	v_fma_f64 v[152:153], v[4:5], s[20:21], -v[10:11]
	v_fma_f64 v[4:5], v[4:5], s[20:21], v[10:11]
	v_fma_f64 v[154:155], v[6:7], s[20:21], v[8:9]
	;; [unrolled: 1-line block ×3, first 2 shown]
	v_fma_f64 v[148:149], v[6:7], s[34:35], -v[148:149]
	v_add_f64 v[10:11], v[90:91], -v[94:95]
	v_add_f64 v[152:153], v[152:153], v[160:161]
	v_add_f64 v[0:1], v[4:5], v[0:1]
	v_fma_f64 v[4:5], v[6:7], s[20:21], -v[8:9]
	v_add_f64 v[8:9], v[88:89], -v[92:93]
	v_add_f64 v[6:7], v[90:91], v[94:95]
	v_add_f64 v[150:151], v[150:151], v[158:159]
	;; [unrolled: 1-line block ×6, first 2 shown]
	v_mul_f64 v[92:93], v[8:9], s[22:23]
	v_mul_f64 v[88:89], v[10:11], s[22:23]
	v_fma_f64 v[94:95], v[6:7], s[20:21], v[92:93]
	v_fma_f64 v[92:93], v[6:7], s[20:21], -v[92:93]
	v_fma_f64 v[90:91], v[4:5], s[20:21], -v[88:89]
	v_fma_f64 v[88:89], v[4:5], s[20:21], v[88:89]
	v_add_f64 v[94:95], v[94:95], v[102:103]
	v_add_f64 v[92:93], v[92:93], v[100:101]
	v_mul_f64 v[100:101], v[8:9], s[50:51]
	v_add_f64 v[88:89], v[88:89], v[96:97]
	v_mul_f64 v[96:97], v[10:11], s[50:51]
	v_add_f64 v[90:91], v[90:91], v[98:99]
	v_fma_f64 v[102:103], v[6:7], s[8:9], v[100:101]
	v_fma_f64 v[100:101], v[6:7], s[8:9], -v[100:101]
	v_fma_f64 v[98:99], v[4:5], s[8:9], -v[96:97]
	v_fma_f64 v[96:97], v[4:5], s[8:9], v[96:97]
	v_add_f64 v[102:103], v[102:103], v[110:111]
	v_add_f64 v[100:101], v[100:101], v[108:109]
	v_mul_f64 v[108:109], v[8:9], s[42:43]
	v_add_f64 v[96:97], v[96:97], v[104:105]
	v_mul_f64 v[104:105], v[10:11], s[42:43]
	v_add_f64 v[98:99], v[98:99], v[106:107]
	;; [unrolled: 10-line block ×5, first 2 shown]
	v_fma_f64 v[134:135], v[6:7], s[24:25], v[132:133]
	v_fma_f64 v[132:133], v[6:7], s[24:25], -v[132:133]
	v_fma_f64 v[130:131], v[4:5], s[24:25], -v[126:127]
	v_fma_f64 v[126:127], v[4:5], s[24:25], v[126:127]
	v_add_f64 v[156:157], v[134:135], v[142:143]
	v_add_f64 v[158:159], v[132:133], v[140:141]
	v_mul_f64 v[132:133], v[10:11], s[40:41]
	v_mul_f64 v[10:11], v[10:11], s[18:19]
	v_add_f64 v[126:127], v[126:127], v[136:137]
	v_add_f64 v[130:131], v[130:131], v[138:139]
	v_fma_f64 v[134:135], v[4:5], s[38:39], -v[132:133]
	v_fma_f64 v[132:133], v[4:5], s[38:39], v[132:133]
	v_add_f64 v[146:147], v[134:135], v[146:147]
	v_mul_f64 v[134:135], v[8:9], s[40:41]
	v_add_f64 v[144:145], v[132:133], v[144:145]
	v_mul_f64 v[8:9], v[8:9], s[18:19]
	v_fma_f64 v[132:133], v[6:7], s[38:39], -v[134:135]
	v_fma_f64 v[136:137], v[6:7], s[38:39], v[134:135]
	v_add_f64 v[148:149], v[132:133], v[148:149]
	v_fma_f64 v[132:133], v[4:5], s[14:15], -v[10:11]
	v_fma_f64 v[4:5], v[4:5], s[14:15], v[10:11]
	v_add_f64 v[10:11], v[82:83], -v[86:87]
	v_add_f64 v[150:151], v[136:137], v[150:151]
	v_add_f64 v[152:153], v[132:133], v[152:153]
	;; [unrolled: 1-line block ×3, first 2 shown]
	v_fma_f64 v[4:5], v[6:7], s[14:15], -v[8:9]
	v_fma_f64 v[132:133], v[6:7], s[14:15], v[8:9]
	v_add_f64 v[8:9], v[80:81], -v[84:85]
	v_add_f64 v[6:7], v[82:83], v[86:87]
	v_add_f64 v[2:3], v[4:5], v[2:3]
	;; [unrolled: 1-line block ×3, first 2 shown]
	v_mul_f64 v[80:81], v[10:11], s[30:31]
	v_mul_f64 v[86:87], v[8:9], s[18:19]
	v_add_f64 v[154:155], v[132:133], v[154:155]
	v_fma_f64 v[82:83], v[4:5], s[26:27], -v[80:81]
	v_fma_f64 v[80:81], v[4:5], s[26:27], v[80:81]
	v_add_f64 v[142:143], v[82:83], v[90:91]
	v_mul_f64 v[82:83], v[8:9], s[30:31]
	v_add_f64 v[138:139], v[80:81], v[88:89]
	v_fma_f64 v[84:85], v[6:7], s[26:27], v[82:83]
	v_fma_f64 v[80:81], v[6:7], s[26:27], -v[82:83]
	v_fma_f64 v[82:83], v[6:7], s[14:15], v[86:87]
	v_fma_f64 v[86:87], v[6:7], s[14:15], -v[86:87]
	v_add_f64 v[140:141], v[84:85], v[94:95]
	v_mul_f64 v[84:85], v[10:11], s[18:19]
	v_add_f64 v[136:137], v[80:81], v[92:93]
	v_add_f64 v[86:87], v[86:87], v[100:101]
	v_mul_f64 v[100:101], v[10:11], s[48:49]
	v_mul_f64 v[94:95], v[8:9], s[44:45]
	;; [unrolled: 1-line block ×3, first 2 shown]
	v_add_f64 v[82:83], v[82:83], v[102:103]
	v_mul_f64 v[102:103], v[8:9], s[48:49]
	v_fma_f64 v[80:81], v[4:5], s[14:15], -v[84:85]
	v_fma_f64 v[84:85], v[4:5], s[14:15], v[84:85]
	v_fma_f64 v[90:91], v[6:7], s[0:1], v[94:95]
	v_fma_f64 v[88:89], v[4:5], s[0:1], -v[92:93]
	v_fma_f64 v[94:95], v[6:7], s[0:1], -v[94:95]
	v_fma_f64 v[92:93], v[4:5], s[0:1], v[92:93]
	v_add_f64 v[80:81], v[80:81], v[98:99]
	v_add_f64 v[84:85], v[84:85], v[96:97]
	v_fma_f64 v[96:97], v[4:5], s[20:21], -v[100:101]
	v_fma_f64 v[100:101], v[4:5], s[20:21], v[100:101]
	v_add_f64 v[90:91], v[90:91], v[110:111]
	v_mul_f64 v[110:111], v[8:9], s[42:43]
	v_add_f64 v[88:89], v[88:89], v[106:107]
	v_fma_f64 v[98:99], v[6:7], s[20:21], v[102:103]
	v_fma_f64 v[102:103], v[6:7], s[20:21], -v[102:103]
	v_add_f64 v[94:95], v[94:95], v[108:109]
	v_mul_f64 v[108:109], v[10:11], s[42:43]
	v_add_f64 v[92:93], v[92:93], v[104:105]
	v_add_f64 v[96:97], v[96:97], v[114:115]
	;; [unrolled: 1-line block ×3, first 2 shown]
	v_mul_f64 v[112:113], v[10:11], s[40:41]
	v_fma_f64 v[106:107], v[6:7], s[34:35], v[110:111]
	v_fma_f64 v[110:111], v[6:7], s[34:35], -v[110:111]
	v_add_f64 v[98:99], v[98:99], v[120:121]
	v_add_f64 v[102:103], v[102:103], v[116:117]
	v_fma_f64 v[104:105], v[4:5], s[34:35], -v[108:109]
	v_fma_f64 v[108:109], v[4:5], s[34:35], v[108:109]
	v_fma_f64 v[114:115], v[4:5], s[38:39], -v[112:113]
	v_fma_f64 v[112:113], v[4:5], s[38:39], v[112:113]
	v_add_f64 v[106:107], v[106:107], v[128:129]
	v_add_f64 v[110:111], v[110:111], v[124:125]
	;; [unrolled: 1-line block ×5, first 2 shown]
	v_mul_f64 v[114:115], v[8:9], s[40:41]
	v_add_f64 v[130:131], v[112:113], v[126:127]
	v_fma_f64 v[112:113], v[6:7], s[38:39], -v[114:115]
	v_fma_f64 v[116:117], v[6:7], s[38:39], v[114:115]
	v_add_f64 v[128:129], v[112:113], v[158:159]
	v_mul_f64 v[112:113], v[10:11], s[28:29]
	v_mul_f64 v[10:11], v[10:11], s[10:11]
	v_add_f64 v[132:133], v[116:117], v[156:157]
	v_fma_f64 v[114:115], v[4:5], s[24:25], -v[112:113]
	v_fma_f64 v[112:113], v[4:5], s[24:25], v[112:113]
	v_add_f64 v[126:127], v[114:115], v[146:147]
	v_mul_f64 v[114:115], v[8:9], s[28:29]
	v_add_f64 v[122:123], v[112:113], v[144:145]
	v_mul_f64 v[8:9], v[8:9], s[10:11]
	v_add_f64 v[146:147], v[74:75], -v[78:79]
	v_add_f64 v[144:145], v[74:75], v[78:79]
	v_fma_f64 v[112:113], v[6:7], s[24:25], -v[114:115]
	v_fma_f64 v[116:117], v[6:7], s[24:25], v[114:115]
	v_add_f64 v[124:125], v[112:113], v[148:149]
	v_fma_f64 v[112:113], v[4:5], s[8:9], -v[10:11]
	v_fma_f64 v[4:5], v[4:5], s[8:9], v[10:11]
	v_add_f64 v[120:121], v[116:117], v[150:151]
	v_add_f64 v[118:119], v[112:113], v[152:153]
	v_fma_f64 v[112:113], v[6:7], s[8:9], v[8:9]
	v_add_f64 v[114:115], v[4:5], v[0:1]
	v_fma_f64 v[0:1], v[6:7], s[8:9], -v[8:9]
	v_mul_f64 v[4:5], v[146:147], s[40:41]
	v_add_f64 v[116:117], v[112:113], v[154:155]
	v_add_f64 v[112:113], v[0:1], v[2:3]
	;; [unrolled: 1-line block ×3, first 2 shown]
	v_add_f64 v[2:3], v[72:73], -v[76:77]
	v_fma_f64 v[6:7], v[0:1], s[38:39], -v[4:5]
	v_fma_f64 v[4:5], v[0:1], s[38:39], v[4:5]
	v_add_f64 v[72:73], v[6:7], v[142:143]
	v_mul_f64 v[6:7], v[2:3], s[40:41]
	v_add_f64 v[76:77], v[4:5], v[138:139]
	v_fma_f64 v[4:5], v[144:145], s[38:39], -v[6:7]
	v_fma_f64 v[8:9], v[144:145], s[38:39], v[6:7]
	v_add_f64 v[78:79], v[4:5], v[136:137]
	v_mul_f64 v[4:5], v[146:147], s[36:37]
	v_add_f64 v[74:75], v[8:9], v[140:141]
	;; [unrolled: 5-line block ×11, first 2 shown]
	v_fma_f64 v[8:9], v[144:145], s[14:15], v[6:7]
	v_fma_f64 v[4:5], v[144:145], s[14:15], -v[6:7]
	v_add_f64 v[136:137], v[8:9], v[132:133]
	v_add_f64 v[132:133], v[4:5], v[128:129]
	v_mul_f64 v[4:5], v[146:147], s[10:11]
	v_fma_f64 v[6:7], v[0:1], s[8:9], -v[4:5]
	v_fma_f64 v[4:5], v[0:1], s[8:9], v[4:5]
	v_add_f64 v[126:127], v[6:7], v[126:127]
	v_mul_f64 v[6:7], v[2:3], s[10:11]
	v_mul_f64 v[2:3], v[2:3], s[16:17]
	v_fma_f64 v[8:9], v[144:145], s[8:9], v[6:7]
	v_add_f64 v[128:129], v[8:9], v[120:121]
	v_add_f64 v[120:121], v[4:5], v[122:123]
	v_fma_f64 v[4:5], v[144:145], s[8:9], -v[6:7]
	v_add_f64 v[122:123], v[4:5], v[124:125]
	v_mul_f64 v[4:5], v[146:147], s[16:17]
	v_fma_f64 v[6:7], v[0:1], s[0:1], -v[4:5]
	v_fma_f64 v[0:1], v[0:1], s[0:1], v[4:5]
	v_mul_lo_u16 v4, v214, 17
	v_mov_b32_e32 v5, 4
	v_lshlrev_b32_sdwa v246, v5, v4 dst_sel:DWORD dst_unused:UNUSED_PAD src0_sel:DWORD src1_sel:WORD_0
	v_and_b32_e32 v4, 0xff, v214
	v_mul_lo_u16 v4, 0xf1, v4
	v_lshrrev_b16 v215, 12, v4
	v_add_f64 v[138:139], v[6:7], v[118:119]
	v_fma_f64 v[6:7], v[144:145], s[0:1], v[2:3]
	v_fma_f64 v[2:3], v[144:145], s[0:1], -v[2:3]
	v_mul_lo_u16 v4, v215, 17
	v_add_f64 v[0:1], v[0:1], v[114:115]
	v_sub_nc_u16 v4, v214, v4
	v_and_b32_e32 v218, 0xff, v4
	v_lshlrev_b32_e32 v8, 8, v218
	v_add_f64 v[140:141], v[6:7], v[116:117]
	v_add_f64 v[2:3], v[2:3], v[112:113]
	ds_write_b128 v246, v[68:71]
	ds_write_b128 v246, v[72:75] offset:16
	ds_write_b128 v246, v[80:83] offset:32
	;; [unrolled: 1-line block ×16, first 2 shown]
	s_waitcnt lgkmcnt(0)
	s_barrier
	buffer_gl0_inv
	ds_read_b128 v[136:139], v255
	ds_read_b128 v[0:3], v255 offset:816
	ds_read_b128 v[80:83], v255 offset:1632
	;; [unrolled: 1-line block ×16, first 2 shown]
	s_clause 0x3
	global_load_dwordx4 v[68:71], v8, s[2:3] offset:48
	global_load_dwordx4 v[72:75], v8, s[2:3] offset:32
	;; [unrolled: 1-line block ×3, first 2 shown]
	global_load_dwordx4 v[92:95], v8, s[2:3]
	s_waitcnt vmcnt(0) lgkmcnt(15)
	v_mul_f64 v[4:5], v[2:3], v[94:95]
	v_fma_f64 v[4:5], v[0:1], v[92:93], -v[4:5]
	v_mul_f64 v[0:1], v[0:1], v[94:95]
	v_add_f64 v[10:11], v[136:137], v[4:5]
	v_fma_f64 v[194:195], v[2:3], v[92:93], v[0:1]
	s_waitcnt lgkmcnt(14)
	v_mul_f64 v[0:1], v[82:83], v[78:79]
	v_fma_f64 v[192:193], v[80:81], v[76:77], -v[0:1]
	v_mul_f64 v[0:1], v[80:81], v[78:79]
	v_add_f64 v[10:11], v[10:11], v[192:193]
	v_fma_f64 v[190:191], v[82:83], v[76:77], v[0:1]
	s_waitcnt lgkmcnt(13)
	;; [unrolled: 6-line block ×3, first 2 shown]
	v_mul_f64 v[0:1], v[90:91], v[70:71]
	v_fma_f64 v[2:3], v[88:89], v[68:69], -v[0:1]
	v_mul_f64 v[0:1], v[88:89], v[70:71]
	v_add_f64 v[10:11], v[10:11], v[2:3]
	v_fma_f64 v[182:183], v[90:91], v[68:69], v[0:1]
	s_clause 0x3
	global_load_dwordx4 v[80:83], v8, s[2:3] offset:112
	global_load_dwordx4 v[84:87], v8, s[2:3] offset:96
	;; [unrolled: 1-line block ×4, first 2 shown]
	s_waitcnt vmcnt(0) lgkmcnt(11)
	v_mul_f64 v[0:1], v[98:99], v[110:111]
	v_fma_f64 v[180:181], v[96:97], v[108:109], -v[0:1]
	v_mul_f64 v[0:1], v[96:97], v[110:111]
	v_add_f64 v[10:11], v[10:11], v[180:181]
	v_fma_f64 v[174:175], v[98:99], v[108:109], v[0:1]
	s_waitcnt lgkmcnt(10)
	v_mul_f64 v[0:1], v[102:103], v[90:91]
	v_fma_f64 v[172:173], v[100:101], v[88:89], -v[0:1]
	v_mul_f64 v[0:1], v[100:101], v[90:91]
	v_add_f64 v[10:11], v[10:11], v[172:173]
	v_fma_f64 v[166:167], v[102:103], v[88:89], v[0:1]
	s_waitcnt lgkmcnt(9)
	;; [unrolled: 6-line block ×3, first 2 shown]
	v_mul_f64 v[0:1], v[114:115], v[82:83]
	v_fma_f64 v[156:157], v[112:113], v[80:81], -v[0:1]
	v_mul_f64 v[0:1], v[112:113], v[82:83]
	v_add_f64 v[10:11], v[10:11], v[156:157]
	v_fma_f64 v[152:153], v[114:115], v[80:81], v[0:1]
	s_clause 0x3
	global_load_dwordx4 v[96:99], v8, s[2:3] offset:176
	global_load_dwordx4 v[100:103], v8, s[2:3] offset:160
	;; [unrolled: 1-line block ×4, first 2 shown]
	s_waitcnt vmcnt(3) lgkmcnt(4)
	v_mul_f64 v[6:7], v[116:117], v[98:99]
	s_waitcnt vmcnt(0)
	v_mul_f64 v[0:1], v[130:131], v[114:115]
	v_fma_f64 v[178:179], v[118:119], v[96:97], v[6:7]
	v_fma_f64 v[160:161], v[128:129], v[112:113], -v[0:1]
	v_mul_f64 v[0:1], v[128:129], v[114:115]
	v_add_f64 v[10:11], v[10:11], v[160:161]
	v_fma_f64 v[154:155], v[130:131], v[112:113], v[0:1]
	v_mul_f64 v[0:1], v[126:127], v[106:107]
	v_fma_f64 v[168:169], v[124:125], v[104:105], -v[0:1]
	v_mul_f64 v[0:1], v[124:125], v[106:107]
	v_add_f64 v[10:11], v[10:11], v[168:169]
	v_fma_f64 v[162:163], v[126:127], v[104:105], v[0:1]
	v_mul_f64 v[0:1], v[122:123], v[102:103]
	;; [unrolled: 5-line block ×3, first 2 shown]
	v_fma_f64 v[0:1], v[116:117], v[96:97], -v[0:1]
	s_clause 0x3
	global_load_dwordx4 v[116:119], v8, s[2:3] offset:240
	global_load_dwordx4 v[120:123], v8, s[2:3] offset:224
	;; [unrolled: 1-line block ×4, first 2 shown]
	s_waitcnt vmcnt(0) lgkmcnt(0)
	s_barrier
	buffer_gl0_inv
	v_add_f64 v[10:11], v[10:11], v[0:1]
	v_mul_f64 v[8:9], v[132:133], v[118:119]
	v_mul_f64 v[6:7], v[150:151], v[130:131]
	v_fma_f64 v[8:9], v[134:135], v[116:117], v[8:9]
	v_fma_f64 v[188:189], v[148:149], v[128:129], -v[6:7]
	v_mul_f64 v[6:7], v[148:149], v[130:131]
	v_add_f64 v[200:201], v[194:195], v[8:9]
	v_add_f64 v[10:11], v[10:11], v[188:189]
	v_fma_f64 v[148:149], v[150:151], v[128:129], v[6:7]
	v_mul_f64 v[6:7], v[146:147], v[126:127]
	v_fma_f64 v[150:151], v[144:145], v[124:125], -v[6:7]
	v_mul_f64 v[6:7], v[144:145], v[126:127]
	v_add_f64 v[10:11], v[10:11], v[150:151]
	v_fma_f64 v[144:145], v[146:147], v[124:125], v[6:7]
	v_mul_f64 v[6:7], v[142:143], v[122:123]
	v_fma_f64 v[146:147], v[140:141], v[120:121], -v[6:7]
	v_mul_f64 v[6:7], v[140:141], v[122:123]
	v_add_f64 v[10:11], v[10:11], v[146:147]
	v_fma_f64 v[140:141], v[142:143], v[120:121], v[6:7]
	v_mul_f64 v[6:7], v[134:135], v[118:119]
	v_add_f64 v[18:19], v[190:191], v[140:141]
	v_fma_f64 v[6:7], v[132:133], v[116:117], -v[6:7]
	v_add_f64 v[132:133], v[138:139], v[194:195]
	v_add_f64 v[132:133], v[132:133], v[190:191]
	;; [unrolled: 1-line block ×17, first 2 shown]
	v_add_f64 v[4:5], v[4:5], -v[6:7]
	v_add_f64 v[6:7], v[194:195], -v[8:9]
	v_add_f64 v[134:135], v[134:135], v[8:9]
	v_mul_f64 v[196:197], v[4:5], s[42:43]
	v_mul_f64 v[8:9], v[6:7], s[42:43]
	;; [unrolled: 1-line block ×14, first 2 shown]
	v_fma_f64 v[142:143], v[10:11], s[34:35], -v[8:9]
	v_fma_f64 v[8:9], v[10:11], s[34:35], v[8:9]
	v_fma_f64 v[210:211], v[10:11], s[14:15], -v[208:209]
	v_fma_f64 v[208:209], v[10:11], s[14:15], v[208:209]
	;; [unrolled: 2-line block ×6, first 2 shown]
	v_fma_f64 v[14:15], v[10:11], s[26:27], v[249:250]
	v_fma_f64 v[249:250], v[200:201], s[26:27], -v[253:254]
	v_fma_f64 v[206:207], v[200:201], s[24:25], v[204:205]
	v_fma_f64 v[204:205], v[200:201], s[24:25], -v[204:205]
	v_fma_f64 v[221:222], v[200:201], s[14:15], v[219:220]
	v_fma_f64 v[219:220], v[200:201], s[14:15], -v[219:220]
	v_fma_f64 v[229:230], v[200:201], s[0:1], v[227:228]
	v_fma_f64 v[227:228], v[200:201], s[0:1], -v[227:228]
	v_fma_f64 v[237:238], v[200:201], s[8:9], v[235:236]
	v_fma_f64 v[235:236], v[200:201], s[8:9], -v[235:236]
	v_add_f64 v[198:199], v[136:137], v[142:143]
	v_add_f64 v[194:195], v[136:137], v[8:9]
	v_fma_f64 v[8:9], v[200:201], s[34:35], -v[196:197]
	v_fma_f64 v[142:143], v[200:201], s[34:35], v[196:197]
	v_add_f64 v[210:211], v[136:137], v[210:211]
	v_add_f64 v[208:209], v[136:137], v[208:209]
	;; [unrolled: 1-line block ×7, first 2 shown]
	v_fma_f64 v[247:248], v[200:201], s[20:21], v[243:244]
	v_add_f64 v[239:240], v[136:137], v[239:240]
	v_fma_f64 v[243:244], v[200:201], s[20:21], -v[243:244]
	v_add_f64 v[251:252], v[136:137], v[251:252]
	v_add_f64 v[14:15], v[136:137], v[14:15]
	v_fma_f64 v[16:17], v[200:201], s[38:39], v[4:5]
	v_fma_f64 v[4:5], v[200:201], s[38:39], -v[4:5]
	v_add_f64 v[206:207], v[138:139], v[206:207]
	v_add_f64 v[204:205], v[138:139], v[204:205]
	;; [unrolled: 1-line block ×7, first 2 shown]
	v_mul_f64 v[8:9], v[6:7], s[46:47]
	v_mul_f64 v[6:7], v[6:7], s[40:41]
	v_add_f64 v[142:143], v[138:139], v[142:143]
	v_add_f64 v[237:238], v[138:139], v[237:238]
	;; [unrolled: 1-line block ×9, first 2 shown]
	v_add_f64 v[138:139], v[190:191], -v[140:141]
	v_fma_f64 v[202:203], v[10:11], s[24:25], -v[8:9]
	v_fma_f64 v[8:9], v[10:11], s[24:25], v[8:9]
	v_fma_f64 v[253:254], v[10:11], s[38:39], -v[6:7]
	v_fma_f64 v[6:7], v[10:11], s[38:39], v[6:7]
	v_add_f64 v[10:11], v[192:193], v[146:147]
	v_mul_f64 v[140:141], v[138:139], s[46:47]
	v_add_f64 v[202:203], v[136:137], v[202:203]
	v_add_f64 v[8:9], v[136:137], v[8:9]
	;; [unrolled: 1-line block ×4, first 2 shown]
	v_add_f64 v[136:137], v[192:193], -v[146:147]
	v_fma_f64 v[146:147], v[10:11], s[24:25], -v[140:141]
	v_fma_f64 v[140:141], v[10:11], s[24:25], v[140:141]
	v_mul_f64 v[190:191], v[136:137], s[46:47]
	v_add_f64 v[146:147], v[146:147], v[198:199]
	v_add_f64 v[140:141], v[140:141], v[194:195]
	v_fma_f64 v[192:193], v[18:19], s[24:25], v[190:191]
	v_fma_f64 v[190:191], v[18:19], s[24:25], -v[190:191]
	v_add_f64 v[142:143], v[192:193], v[142:143]
	v_mul_f64 v[192:193], v[138:139], s[44:45]
	v_add_f64 v[190:191], v[190:191], v[196:197]
	v_mul_f64 v[196:197], v[136:137], s[44:45]
	v_fma_f64 v[194:195], v[10:11], s[0:1], -v[192:193]
	v_fma_f64 v[192:193], v[10:11], s[0:1], v[192:193]
	v_fma_f64 v[198:199], v[18:19], s[0:1], v[196:197]
	v_add_f64 v[194:195], v[194:195], v[202:203]
	v_add_f64 v[8:9], v[192:193], v[8:9]
	v_fma_f64 v[192:193], v[18:19], s[0:1], -v[196:197]
	v_mul_f64 v[196:197], v[138:139], s[22:23]
	v_add_f64 v[198:199], v[198:199], v[206:207]
	v_mul_f64 v[202:203], v[136:137], s[22:23]
	v_mul_f64 v[206:207], v[138:139], s[40:41]
	v_add_f64 v[192:193], v[192:193], v[204:205]
	v_fma_f64 v[200:201], v[10:11], s[20:21], -v[196:197]
	v_fma_f64 v[196:197], v[10:11], s[20:21], v[196:197]
	v_fma_f64 v[204:205], v[18:19], s[20:21], v[202:203]
	v_fma_f64 v[202:203], v[18:19], s[20:21], -v[202:203]
	v_add_f64 v[200:201], v[200:201], v[210:211]
	v_add_f64 v[196:197], v[196:197], v[208:209]
	v_fma_f64 v[208:209], v[10:11], s[38:39], -v[206:207]
	v_mul_f64 v[210:211], v[136:137], s[40:41]
	v_add_f64 v[204:205], v[204:205], v[221:222]
	v_add_f64 v[202:203], v[202:203], v[219:220]
	v_fma_f64 v[206:207], v[10:11], s[38:39], v[206:207]
	v_mul_f64 v[221:222], v[138:139], s[54:55]
	v_add_f64 v[208:209], v[208:209], v[225:226]
	v_fma_f64 v[219:220], v[18:19], s[38:39], v[210:211]
	v_fma_f64 v[210:211], v[18:19], s[38:39], -v[210:211]
	v_mul_f64 v[225:226], v[136:137], s[54:55]
	v_add_f64 v[206:207], v[206:207], v[223:224]
	v_fma_f64 v[223:224], v[10:11], s[26:27], -v[221:222]
	v_fma_f64 v[221:222], v[10:11], s[26:27], v[221:222]
	v_add_f64 v[219:220], v[219:220], v[229:230]
	v_add_f64 v[210:211], v[210:211], v[227:228]
	v_fma_f64 v[227:228], v[18:19], s[26:27], v[225:226]
	v_mul_f64 v[229:230], v[138:139], s[50:51]
	v_add_f64 v[223:224], v[223:224], v[233:234]
	v_add_f64 v[221:222], v[221:222], v[231:232]
	v_fma_f64 v[225:226], v[18:19], s[26:27], -v[225:226]
	v_mul_f64 v[233:234], v[136:137], s[50:51]
	v_add_f64 v[227:228], v[227:228], v[237:238]
	v_fma_f64 v[231:232], v[10:11], s[8:9], -v[229:230]
	v_fma_f64 v[229:230], v[10:11], s[8:9], v[229:230]
	v_mul_f64 v[237:238], v[138:139], s[18:19]
	v_add_f64 v[225:226], v[225:226], v[235:236]
	v_fma_f64 v[235:236], v[18:19], s[8:9], v[233:234]
	v_fma_f64 v[233:234], v[18:19], s[8:9], -v[233:234]
	v_mul_f64 v[138:139], v[138:139], s[36:37]
	v_add_f64 v[231:232], v[231:232], v[241:242]
	v_add_f64 v[229:230], v[229:230], v[239:240]
	v_fma_f64 v[239:240], v[10:11], s[14:15], -v[237:238]
	v_mul_f64 v[241:242], v[136:137], s[18:19]
	v_fma_f64 v[237:238], v[10:11], s[14:15], v[237:238]
	v_add_f64 v[233:234], v[233:234], v[243:244]
	v_mul_f64 v[136:137], v[136:137], s[36:37]
	v_add_f64 v[235:236], v[235:236], v[247:248]
	v_add_f64 v[239:240], v[239:240], v[251:252]
	v_fma_f64 v[243:244], v[18:19], s[14:15], v[241:242]
	v_add_f64 v[14:15], v[237:238], v[14:15]
	v_fma_f64 v[237:238], v[18:19], s[14:15], -v[241:242]
	v_fma_f64 v[241:242], v[10:11], s[34:35], -v[138:139]
	v_fma_f64 v[10:11], v[10:11], s[34:35], v[138:139]
	v_add_f64 v[138:139], v[184:185], -v[144:145]
	v_add_f64 v[12:13], v[243:244], v[12:13]
	v_fma_f64 v[243:244], v[18:19], s[34:35], v[136:137]
	v_add_f64 v[237:238], v[237:238], v[249:250]
	v_add_f64 v[241:242], v[241:242], v[253:254]
	v_add_f64 v[6:7], v[10:11], v[6:7]
	v_fma_f64 v[10:11], v[18:19], s[34:35], -v[136:137]
	v_add_f64 v[18:19], v[184:185], v[144:145]
	v_mul_f64 v[144:145], v[138:139], s[52:53]
	v_add_f64 v[136:137], v[186:187], -v[150:151]
	v_add_f64 v[16:17], v[243:244], v[16:17]
	v_add_f64 v[4:5], v[10:11], v[4:5]
	;; [unrolled: 1-line block ×3, first 2 shown]
	v_mul_f64 v[186:187], v[136:137], s[22:23]
	v_fma_f64 v[150:151], v[10:11], s[14:15], -v[144:145]
	v_fma_f64 v[144:145], v[10:11], s[14:15], v[144:145]
	v_add_f64 v[146:147], v[150:151], v[146:147]
	v_mul_f64 v[150:151], v[136:137], s[52:53]
	v_add_f64 v[140:141], v[144:145], v[140:141]
	v_fma_f64 v[184:185], v[18:19], s[14:15], v[150:151]
	v_fma_f64 v[144:145], v[18:19], s[14:15], -v[150:151]
	v_mul_f64 v[150:151], v[138:139], s[22:23]
	v_add_f64 v[142:143], v[184:185], v[142:143]
	v_add_f64 v[144:145], v[144:145], v[190:191]
	v_fma_f64 v[184:185], v[10:11], s[20:21], -v[150:151]
	v_fma_f64 v[150:151], v[10:11], s[20:21], v[150:151]
	v_fma_f64 v[190:191], v[18:19], s[20:21], v[186:187]
	v_add_f64 v[184:185], v[184:185], v[194:195]
	v_add_f64 v[8:9], v[150:151], v[8:9]
	v_fma_f64 v[150:151], v[18:19], s[20:21], -v[186:187]
	v_mul_f64 v[186:187], v[138:139], s[56:57]
	v_mul_f64 v[194:195], v[136:137], s[56:57]
	v_add_f64 v[190:191], v[190:191], v[198:199]
	v_add_f64 v[150:151], v[150:151], v[192:193]
	v_fma_f64 v[192:193], v[10:11], s[38:39], -v[186:187]
	v_fma_f64 v[186:187], v[10:11], s[38:39], v[186:187]
	v_fma_f64 v[198:199], v[18:19], s[38:39], v[194:195]
	v_fma_f64 v[194:195], v[18:19], s[38:39], -v[194:195]
	v_add_f64 v[192:193], v[192:193], v[200:201]
	v_add_f64 v[186:187], v[186:187], v[196:197]
	v_mul_f64 v[196:197], v[138:139], s[50:51]
	v_add_f64 v[194:195], v[194:195], v[202:203]
	v_mul_f64 v[202:203], v[136:137], s[50:51]
	v_add_f64 v[198:199], v[198:199], v[204:205]
	v_fma_f64 v[200:201], v[10:11], s[8:9], -v[196:197]
	v_fma_f64 v[196:197], v[10:11], s[8:9], v[196:197]
	v_fma_f64 v[204:205], v[18:19], s[8:9], v[202:203]
	v_fma_f64 v[202:203], v[18:19], s[8:9], -v[202:203]
	v_add_f64 v[200:201], v[200:201], v[208:209]
	v_add_f64 v[196:197], v[196:197], v[206:207]
	v_mul_f64 v[206:207], v[138:139], s[28:29]
	v_add_f64 v[202:203], v[202:203], v[210:211]
	v_mul_f64 v[210:211], v[136:137], s[28:29]
	;; [unrolled: 10-line block ×4, first 2 shown]
	v_mul_f64 v[138:139], v[138:139], s[30:31]
	v_add_f64 v[227:228], v[227:228], v[235:236]
	v_mul_f64 v[136:137], v[136:137], s[30:31]
	v_fma_f64 v[231:232], v[10:11], s[0:1], -v[229:230]
	v_fma_f64 v[229:230], v[10:11], s[0:1], v[229:230]
	v_fma_f64 v[235:236], v[18:19], s[0:1], v[233:234]
	v_add_f64 v[231:232], v[231:232], v[239:240]
	v_add_f64 v[14:15], v[229:230], v[14:15]
	v_fma_f64 v[229:230], v[18:19], s[0:1], -v[233:234]
	v_fma_f64 v[233:234], v[10:11], s[26:27], -v[138:139]
	v_fma_f64 v[10:11], v[10:11], s[26:27], v[138:139]
	v_add_f64 v[12:13], v[235:236], v[12:13]
	v_fma_f64 v[235:236], v[18:19], s[26:27], v[136:137]
	v_add_f64 v[229:230], v[229:230], v[237:238]
	v_add_f64 v[233:234], v[233:234], v[241:242]
	;; [unrolled: 1-line block ×3, first 2 shown]
	v_fma_f64 v[10:11], v[18:19], s[26:27], -v[136:137]
	v_add_f64 v[136:137], v[182:183], -v[148:149]
	v_add_f64 v[18:19], v[182:183], v[148:149]
	v_add_f64 v[16:17], v[235:236], v[16:17]
	;; [unrolled: 1-line block ×4, first 2 shown]
	v_mul_f64 v[138:139], v[136:137], s[44:45]
	v_add_f64 v[2:3], v[2:3], -v[188:189]
	v_fma_f64 v[148:149], v[10:11], s[0:1], -v[138:139]
	v_fma_f64 v[138:139], v[10:11], s[0:1], v[138:139]
	v_mul_f64 v[188:189], v[2:3], s[50:51]
	v_add_f64 v[146:147], v[148:149], v[146:147]
	v_mul_f64 v[148:149], v[2:3], s[44:45]
	v_add_f64 v[138:139], v[138:139], v[140:141]
	v_fma_f64 v[140:141], v[18:19], s[0:1], -v[148:149]
	v_fma_f64 v[182:183], v[18:19], s[0:1], v[148:149]
	v_add_f64 v[140:141], v[140:141], v[144:145]
	v_mul_f64 v[144:145], v[136:137], s[40:41]
	v_add_f64 v[142:143], v[182:183], v[142:143]
	v_mul_f64 v[182:183], v[2:3], s[40:41]
	v_fma_f64 v[148:149], v[10:11], s[38:39], -v[144:145]
	v_fma_f64 v[144:145], v[10:11], s[38:39], v[144:145]
	v_add_f64 v[148:149], v[148:149], v[184:185]
	v_add_f64 v[8:9], v[144:145], v[8:9]
	v_fma_f64 v[144:145], v[18:19], s[38:39], -v[182:183]
	v_fma_f64 v[184:185], v[18:19], s[38:39], v[182:183]
	v_add_f64 v[144:145], v[144:145], v[150:151]
	v_mul_f64 v[150:151], v[136:137], s[50:51]
	v_add_f64 v[184:185], v[184:185], v[190:191]
	v_fma_f64 v[190:191], v[18:19], s[8:9], v[188:189]
	v_fma_f64 v[182:183], v[10:11], s[8:9], -v[150:151]
	v_fma_f64 v[150:151], v[10:11], s[8:9], v[150:151]
	v_add_f64 v[190:191], v[190:191], v[198:199]
	v_add_f64 v[182:183], v[182:183], v[192:193]
	;; [unrolled: 1-line block ×3, first 2 shown]
	v_fma_f64 v[186:187], v[18:19], s[8:9], -v[188:189]
	v_mul_f64 v[188:189], v[136:137], s[36:37]
	v_add_f64 v[186:187], v[186:187], v[194:195]
	v_mul_f64 v[194:195], v[2:3], s[36:37]
	v_fma_f64 v[192:193], v[10:11], s[34:35], -v[188:189]
	v_fma_f64 v[188:189], v[10:11], s[34:35], v[188:189]
	v_fma_f64 v[198:199], v[18:19], s[34:35], v[194:195]
	v_fma_f64 v[194:195], v[18:19], s[34:35], -v[194:195]
	v_add_f64 v[188:189], v[188:189], v[196:197]
	v_mul_f64 v[196:197], v[136:137], s[52:53]
	v_add_f64 v[192:193], v[192:193], v[200:201]
	v_add_f64 v[198:199], v[198:199], v[204:205]
	v_add_f64 v[194:195], v[194:195], v[202:203]
	v_mul_f64 v[202:203], v[2:3], s[52:53]
	v_fma_f64 v[200:201], v[10:11], s[14:15], -v[196:197]
	v_fma_f64 v[196:197], v[10:11], s[14:15], v[196:197]
	v_fma_f64 v[204:205], v[18:19], s[14:15], v[202:203]
	v_fma_f64 v[202:203], v[18:19], s[14:15], -v[202:203]
	v_add_f64 v[196:197], v[196:197], v[206:207]
	v_mul_f64 v[206:207], v[136:137], s[30:31]
	v_add_f64 v[200:201], v[200:201], v[208:209]
	v_add_f64 v[204:205], v[204:205], v[219:220]
	;; [unrolled: 1-line block ×3, first 2 shown]
	v_mul_f64 v[210:211], v[2:3], s[30:31]
	v_fma_f64 v[208:209], v[10:11], s[26:27], -v[206:207]
	v_fma_f64 v[206:207], v[10:11], s[26:27], v[206:207]
	v_fma_f64 v[219:220], v[18:19], s[26:27], v[210:211]
	v_fma_f64 v[210:211], v[18:19], s[26:27], -v[210:211]
	v_add_f64 v[206:207], v[206:207], v[221:222]
	v_mul_f64 v[221:222], v[136:137], s[48:49]
	v_add_f64 v[208:209], v[208:209], v[223:224]
	v_mul_f64 v[136:137], v[136:137], s[28:29]
	v_add_f64 v[219:220], v[219:220], v[227:228]
	v_add_f64 v[210:211], v[210:211], v[225:226]
	v_mul_f64 v[225:226], v[2:3], s[48:49]
	v_fma_f64 v[223:224], v[10:11], s[20:21], -v[221:222]
	v_fma_f64 v[221:222], v[10:11], s[20:21], v[221:222]
	v_mul_f64 v[2:3], v[2:3], s[28:29]
	v_fma_f64 v[227:228], v[18:19], s[20:21], v[225:226]
	v_add_f64 v[223:224], v[223:224], v[231:232]
	v_add_f64 v[14:15], v[221:222], v[14:15]
	v_fma_f64 v[221:222], v[18:19], s[20:21], -v[225:226]
	v_fma_f64 v[225:226], v[10:11], s[24:25], -v[136:137]
	v_fma_f64 v[10:11], v[10:11], s[24:25], v[136:137]
	v_add_f64 v[12:13], v[227:228], v[12:13]
	v_fma_f64 v[227:228], v[18:19], s[24:25], v[2:3]
	v_fma_f64 v[2:3], v[18:19], s[24:25], -v[2:3]
	v_add_f64 v[18:19], v[174:175], -v[178:179]
	v_add_f64 v[221:222], v[221:222], v[229:230]
	v_add_f64 v[6:7], v[10:11], v[6:7]
	;; [unrolled: 1-line block ×4, first 2 shown]
	v_add_f64 v[229:230], v[158:159], -v[162:163]
	v_add_f64 v[16:17], v[227:228], v[16:17]
	v_add_f64 v[2:3], v[2:3], v[4:5]
	;; [unrolled: 1-line block ×3, first 2 shown]
	v_mul_f64 v[136:137], v[18:19], s[10:11]
	v_add_f64 v[0:1], v[180:181], -v[0:1]
	v_add_f64 v[227:228], v[164:165], -v[168:169]
	v_fma_f64 v[174:175], v[4:5], s[8:9], -v[136:137]
	v_fma_f64 v[136:137], v[4:5], s[8:9], v[136:137]
	v_mul_f64 v[180:181], v[0:1], s[28:29]
	v_add_f64 v[146:147], v[174:175], v[146:147]
	v_mul_f64 v[174:175], v[0:1], s[10:11]
	v_add_f64 v[136:137], v[136:137], v[138:139]
	v_fma_f64 v[138:139], v[10:11], s[8:9], -v[174:175]
	v_fma_f64 v[178:179], v[10:11], s[8:9], v[174:175]
	v_add_f64 v[138:139], v[138:139], v[140:141]
	v_mul_f64 v[140:141], v[18:19], s[54:55]
	v_add_f64 v[142:143], v[178:179], v[142:143]
	v_fma_f64 v[174:175], v[4:5], s[26:27], -v[140:141]
	v_fma_f64 v[140:141], v[4:5], s[26:27], v[140:141]
	;; [unrolled: 5-line block ×4, first 2 shown]
	v_add_f64 v[174:175], v[174:175], v[182:183]
	v_add_f64 v[144:145], v[144:145], v[150:151]
	v_fma_f64 v[150:151], v[10:11], s[24:25], -v[180:181]
	v_fma_f64 v[182:183], v[10:11], s[24:25], v[180:181]
	v_mul_f64 v[180:181], v[18:19], s[52:53]
	v_add_f64 v[150:151], v[150:151], v[186:187]
	v_mul_f64 v[186:187], v[0:1], s[52:53]
	v_add_f64 v[182:183], v[182:183], v[190:191]
	v_fma_f64 v[184:185], v[4:5], s[14:15], -v[180:181]
	v_fma_f64 v[180:181], v[4:5], s[14:15], v[180:181]
	v_fma_f64 v[190:191], v[10:11], s[14:15], v[186:187]
	v_fma_f64 v[186:187], v[10:11], s[14:15], -v[186:187]
	v_add_f64 v[184:185], v[184:185], v[192:193]
	v_add_f64 v[180:181], v[180:181], v[188:189]
	v_mul_f64 v[188:189], v[18:19], s[40:41]
	v_add_f64 v[190:191], v[190:191], v[198:199]
	v_add_f64 v[186:187], v[186:187], v[194:195]
	v_mul_f64 v[194:195], v[0:1], s[40:41]
	v_fma_f64 v[192:193], v[4:5], s[38:39], -v[188:189]
	v_fma_f64 v[188:189], v[4:5], s[38:39], v[188:189]
	v_fma_f64 v[198:199], v[10:11], s[38:39], v[194:195]
	v_fma_f64 v[194:195], v[10:11], s[38:39], -v[194:195]
	v_add_f64 v[192:193], v[192:193], v[200:201]
	v_add_f64 v[188:189], v[188:189], v[196:197]
	v_mul_f64 v[196:197], v[18:19], s[16:17]
	v_add_f64 v[198:199], v[198:199], v[204:205]
	v_add_f64 v[194:195], v[194:195], v[202:203]
	v_mul_f64 v[202:203], v[0:1], s[16:17]
	v_fma_f64 v[200:201], v[4:5], s[0:1], -v[196:197]
	v_fma_f64 v[196:197], v[4:5], s[0:1], v[196:197]
	v_fma_f64 v[204:205], v[10:11], s[0:1], v[202:203]
	v_fma_f64 v[202:203], v[10:11], s[0:1], -v[202:203]
	v_add_f64 v[200:201], v[200:201], v[208:209]
	v_add_f64 v[196:197], v[196:197], v[206:207]
	v_mul_f64 v[206:207], v[18:19], s[42:43]
	v_mul_f64 v[18:19], v[18:19], s[22:23]
	v_add_f64 v[204:205], v[204:205], v[219:220]
	v_add_f64 v[202:203], v[202:203], v[210:211]
	v_mul_f64 v[210:211], v[0:1], s[42:43]
	v_mul_f64 v[0:1], v[0:1], s[22:23]
	v_fma_f64 v[208:209], v[4:5], s[34:35], -v[206:207]
	v_fma_f64 v[206:207], v[4:5], s[34:35], v[206:207]
	v_fma_f64 v[219:220], v[10:11], s[34:35], v[210:211]
	v_add_f64 v[208:209], v[208:209], v[223:224]
	v_add_f64 v[14:15], v[206:207], v[14:15]
	v_fma_f64 v[206:207], v[10:11], s[34:35], -v[210:211]
	v_fma_f64 v[210:211], v[4:5], s[20:21], -v[18:19]
	v_fma_f64 v[4:5], v[4:5], s[20:21], v[18:19]
	v_add_f64 v[18:19], v[166:167], -v[170:171]
	v_add_f64 v[12:13], v[219:220], v[12:13]
	v_fma_f64 v[219:220], v[10:11], s[20:21], v[0:1]
	v_fma_f64 v[0:1], v[10:11], s[20:21], -v[0:1]
	v_add_f64 v[10:11], v[172:173], -v[176:177]
	v_add_f64 v[206:207], v[206:207], v[221:222]
	v_add_f64 v[210:211], v[210:211], v[225:226]
	;; [unrolled: 1-line block ×4, first 2 shown]
	v_mul_f64 v[166:167], v[18:19], s[22:23]
	v_add_f64 v[16:17], v[219:220], v[16:17]
	v_add_f64 v[0:1], v[0:1], v[2:3]
	;; [unrolled: 1-line block ×3, first 2 shown]
	v_fma_f64 v[170:171], v[2:3], s[20:21], -v[166:167]
	v_fma_f64 v[166:167], v[2:3], s[20:21], v[166:167]
	v_add_f64 v[146:147], v[170:171], v[146:147]
	v_mul_f64 v[170:171], v[10:11], s[22:23]
	v_add_f64 v[136:137], v[166:167], v[136:137]
	v_fma_f64 v[166:167], v[6:7], s[20:21], -v[170:171]
	v_fma_f64 v[172:173], v[6:7], s[20:21], v[170:171]
	v_add_f64 v[138:139], v[166:167], v[138:139]
	v_mul_f64 v[166:167], v[18:19], s[50:51]
	v_add_f64 v[142:143], v[172:173], v[142:143]
	;; [unrolled: 5-line block ×7, first 2 shown]
	v_fma_f64 v[182:183], v[6:7], s[26:27], v[144:145]
	v_fma_f64 v[140:141], v[6:7], s[26:27], -v[144:145]
	v_add_f64 v[182:183], v[182:183], v[190:191]
	v_add_f64 v[190:191], v[140:141], v[186:187]
	v_mul_f64 v[140:141], v[18:19], s[16:17]
	v_fma_f64 v[144:145], v[2:3], s[0:1], -v[140:141]
	v_fma_f64 v[140:141], v[2:3], s[0:1], v[140:141]
	v_add_f64 v[192:193], v[144:145], v[192:193]
	v_mul_f64 v[144:145], v[10:11], s[16:17]
	v_add_f64 v[188:189], v[140:141], v[188:189]
	v_fma_f64 v[140:141], v[6:7], s[0:1], -v[144:145]
	v_fma_f64 v[184:185], v[6:7], s[0:1], v[144:145]
	v_add_f64 v[194:195], v[140:141], v[194:195]
	v_mul_f64 v[140:141], v[18:19], s[46:47]
	v_add_f64 v[198:199], v[184:185], v[198:199]
	;; [unrolled: 5-line block ×3, first 2 shown]
	v_fma_f64 v[140:141], v[6:7], s[24:25], -v[144:145]
	v_fma_f64 v[184:185], v[6:7], s[24:25], v[144:145]
	v_add_f64 v[202:203], v[140:141], v[202:203]
	v_mul_f64 v[140:141], v[18:19], s[40:41]
	v_mul_f64 v[18:19], v[18:19], s[18:19]
	v_add_f64 v[219:220], v[184:185], v[204:205]
	v_fma_f64 v[144:145], v[2:3], s[38:39], -v[140:141]
	v_fma_f64 v[140:141], v[2:3], s[38:39], v[140:141]
	v_add_f64 v[221:222], v[144:145], v[208:209]
	v_mul_f64 v[144:145], v[10:11], s[40:41]
	v_add_f64 v[14:15], v[140:141], v[14:15]
	v_mul_f64 v[10:11], v[10:11], s[18:19]
	v_fma_f64 v[140:141], v[6:7], s[38:39], -v[144:145]
	v_fma_f64 v[184:185], v[6:7], s[38:39], v[144:145]
	v_add_f64 v[223:224], v[140:141], v[206:207]
	v_fma_f64 v[140:141], v[2:3], s[14:15], -v[18:19]
	v_fma_f64 v[2:3], v[2:3], s[14:15], v[18:19]
	v_add_f64 v[18:19], v[158:159], v[162:163]
	v_add_f64 v[12:13], v[184:185], v[12:13]
	;; [unrolled: 1-line block ×4, first 2 shown]
	v_fma_f64 v[2:3], v[6:7], s[14:15], -v[10:11]
	v_fma_f64 v[140:141], v[6:7], s[14:15], v[10:11]
	v_add_f64 v[10:11], v[164:165], v[168:169]
	v_add_f64 v[6:7], v[2:3], v[0:1]
	v_mul_f64 v[0:1], v[229:230], s[30:31]
	v_add_f64 v[16:17], v[140:141], v[16:17]
	v_fma_f64 v[2:3], v[10:11], s[26:27], -v[0:1]
	v_fma_f64 v[0:1], v[10:11], s[26:27], v[0:1]
	v_add_f64 v[231:232], v[2:3], v[146:147]
	v_mul_f64 v[2:3], v[227:228], s[30:31]
	v_add_f64 v[235:236], v[0:1], v[136:137]
	v_fma_f64 v[0:1], v[18:19], s[26:27], -v[2:3]
	v_fma_f64 v[140:141], v[18:19], s[26:27], v[2:3]
	;; [unrolled: 5-line block ×4, first 2 shown]
	v_add_f64 v[186:187], v[0:1], v[166:167]
	v_mul_f64 v[0:1], v[229:230], s[44:45]
	v_add_f64 v[142:143], v[136:137], v[172:173]
	v_mul_f64 v[136:137], v[227:228], s[28:29]
	v_fma_f64 v[2:3], v[10:11], s[0:1], -v[0:1]
	v_fma_f64 v[0:1], v[10:11], s[0:1], v[0:1]
	v_add_f64 v[144:145], v[2:3], v[170:171]
	v_mul_f64 v[2:3], v[227:228], s[44:45]
	v_add_f64 v[148:149], v[0:1], v[178:179]
	v_add_f64 v[178:179], v[152:153], v[154:155]
	v_fma_f64 v[0:1], v[18:19], s[0:1], -v[2:3]
	v_fma_f64 v[8:9], v[18:19], s[0:1], v[2:3]
	v_add_f64 v[150:151], v[0:1], v[150:151]
	v_mul_f64 v[0:1], v[229:230], s[48:49]
	v_add_f64 v[146:147], v[8:9], v[176:177]
	v_fma_f64 v[2:3], v[10:11], s[20:21], -v[0:1]
	v_fma_f64 v[0:1], v[10:11], s[20:21], v[0:1]
	v_add_f64 v[210:211], v[2:3], v[174:175]
	v_mul_f64 v[2:3], v[227:228], s[48:49]
	;; [unrolled: 5-line block ×3, first 2 shown]
	v_add_f64 v[208:209], v[8:9], v[182:183]
	v_add_f64 v[190:191], v[156:157], v[160:161]
	v_fma_f64 v[2:3], v[10:11], s[34:35], -v[0:1]
	v_fma_f64 v[0:1], v[10:11], s[34:35], v[0:1]
	v_add_f64 v[204:205], v[2:3], v[192:193]
	v_mul_f64 v[2:3], v[227:228], s[42:43]
	v_add_f64 v[164:165], v[0:1], v[188:189]
	v_fma_f64 v[0:1], v[18:19], s[34:35], -v[2:3]
	v_fma_f64 v[8:9], v[18:19], s[34:35], v[2:3]
	v_add_f64 v[166:167], v[0:1], v[194:195]
	v_mul_f64 v[0:1], v[229:230], s[40:41]
	;; [unrolled: 5-line block ×3, first 2 shown]
	v_add_f64 v[172:173], v[0:1], v[196:197]
	v_add_f64 v[196:197], v[156:157], -v[160:161]
	v_fma_f64 v[8:9], v[18:19], s[38:39], v[2:3]
	v_fma_f64 v[0:1], v[18:19], s[38:39], -v[2:3]
	v_add_f64 v[170:171], v[8:9], v[219:220]
	v_mul_f64 v[8:9], v[229:230], s[28:29]
	v_add_f64 v[174:175], v[0:1], v[202:203]
	v_add_f64 v[202:203], v[152:153], -v[154:155]
	v_fma_f64 v[0:1], v[10:11], s[24:25], -v[8:9]
	v_fma_f64 v[8:9], v[10:11], s[24:25], v[8:9]
	v_add_f64 v[2:3], v[0:1], v[221:222]
	v_add_f64 v[200:201], v[8:9], v[14:15]
	v_fma_f64 v[8:9], v[18:19], s[24:25], -v[136:137]
	v_fma_f64 v[0:1], v[18:19], s[24:25], v[136:137]
	v_add_f64 v[198:199], v[8:9], v[223:224]
	v_mul_f64 v[8:9], v[229:230], s[10:11]
	v_add_f64 v[0:1], v[0:1], v[12:13]
	v_fma_f64 v[12:13], v[10:11], s[8:9], -v[8:9]
	v_fma_f64 v[8:9], v[10:11], s[8:9], v[8:9]
	v_add_f64 v[194:195], v[12:13], v[225:226]
	v_mul_f64 v[12:13], v[227:228], s[10:11]
	;; [unrolled: 5-line block ×11, first 2 shown]
	v_add_f64 v[154:155], v[8:9], v[208:209]
                                        ; implicit-def: $vgpr208_vgpr209
	v_fma_f64 v[6:7], v[190:191], s[20:21], -v[4:5]
	v_fma_f64 v[4:5], v[190:191], s[20:21], v[4:5]
	v_add_f64 v[160:161], v[6:7], v[204:205]
	v_mul_f64 v[6:7], v[196:197], s[22:23]
	v_add_f64 v[164:165], v[4:5], v[164:165]
	v_fma_f64 v[4:5], v[178:179], s[20:21], -v[6:7]
	v_fma_f64 v[8:9], v[178:179], s[20:21], v[6:7]
	v_add_f64 v[166:167], v[4:5], v[166:167]
	v_mul_f64 v[4:5], v[202:203], s[18:19]
	v_add_f64 v[162:163], v[8:9], v[162:163]
	;; [unrolled: 5-line block ×4, first 2 shown]
	v_fma_f64 v[6:7], v[190:191], s[8:9], -v[4:5]
	v_add_f64 v[204:205], v[6:7], v[2:3]
	v_mul_f64 v[2:3], v[196:197], s[10:11]
	v_fma_f64 v[6:7], v[178:179], s[8:9], v[2:3]
	v_fma_f64 v[2:3], v[178:179], s[8:9], -v[2:3]
	v_add_f64 v[206:207], v[6:7], v[0:1]
	v_fma_f64 v[0:1], v[190:191], s[8:9], v[4:5]
	v_mul_f64 v[4:5], v[202:203], s[16:17]
	v_add_f64 v[2:3], v[2:3], v[198:199]
	v_add_f64 v[0:1], v[0:1], v[200:201]
	v_fma_f64 v[6:7], v[190:191], s[0:1], -v[4:5]
	v_fma_f64 v[4:5], v[190:191], s[0:1], v[4:5]
	v_add_f64 v[194:195], v[6:7], v[194:195]
	v_mul_f64 v[6:7], v[196:197], s[16:17]
	v_add_f64 v[188:189], v[4:5], v[188:189]
	v_fma_f64 v[4:5], v[178:179], s[0:1], -v[6:7]
	v_fma_f64 v[8:9], v[178:179], s[0:1], v[6:7]
	v_add_f64 v[190:191], v[4:5], v[176:177]
	v_mov_b32_e32 v4, 0x121
	v_add_f64 v[196:197], v[8:9], v[192:193]
	v_mul_u32_u24_sdwa v4, v215, v4 dst_sel:DWORD dst_unused:UNUSED_PAD src0_sel:WORD_0 src1_sel:DWORD
	v_add_lshl_u32 v247, v4, v218, 4
	ds_write_b128 v247, v[132:135]
	ds_write_b128 v247, v[136:139] offset:272
	ds_write_b128 v247, v[140:143] offset:544
	;; [unrolled: 1-line block ×16, first 2 shown]
	s_waitcnt lgkmcnt(0)
	s_barrier
	buffer_gl0_inv
	ds_read_b128 v[204:207], v255
	ds_read_b128 v[144:147], v255 offset:4624
	ds_read_b128 v[140:143], v255 offset:9248
	;; [unrolled: 1-line block ×14, first 2 shown]
	s_and_saveexec_b32 s0, vcc_lo
	s_cbranch_execz .LBB0_3
; %bb.2:
	ds_read_b128 v[184:187], v255 offset:4080
	ds_read_b128 v[180:183], v255 offset:8704
	;; [unrolled: 1-line block ×3, first 2 shown]
.LBB0_3:
	s_or_b32 exec_lo, exec_lo, s0
	buffer_load_dword v21, off, s[60:63], 0 ; 4-byte Folded Reload
	s_waitcnt vmcnt(0)
	v_lshlrev_b32_e32 v20, 5, v21
	v_add_co_u32 v2, s0, s2, v20
	v_add_co_ci_u32_e64 v3, null, s3, 0, s0
	v_add_co_u32 v0, s0, 0x1000, v2
	v_add_co_ci_u32_e64 v1, s0, 0, v3, s0
	v_add_co_u32 v2, s0, 0x1100, v2
	v_add_co_ci_u32_e64 v3, s0, 0, v3, s0
	s_clause 0x1
	global_load_dwordx4 v[132:135], v[0:1], off offset:256
	global_load_dwordx4 v[136:139], v[2:3], off offset:16
	s_waitcnt vmcnt(1) lgkmcnt(13)
	v_mul_f64 v[0:1], v[146:147], v[134:135]
	v_fma_f64 v[4:5], v[144:145], v[132:133], -v[0:1]
	v_mul_f64 v[0:1], v[144:145], v[134:135]
	v_fma_f64 v[6:7], v[146:147], v[132:133], v[0:1]
	s_waitcnt vmcnt(0) lgkmcnt(12)
	v_mul_f64 v[0:1], v[142:143], v[138:139]
	v_fma_f64 v[8:9], v[140:141], v[136:137], -v[0:1]
	v_mul_f64 v[0:1], v[140:141], v[138:139]
	v_fma_f64 v[10:11], v[142:143], v[136:137], v[0:1]
	v_add_nc_u32_e32 v0, 0x660, v20
	v_add_co_u32 v2, s0, s2, v0
	v_add_co_ci_u32_e64 v3, null, s3, 0, s0
	v_add_co_u32 v0, s0, 0x1000, v2
	v_add_co_ci_u32_e64 v1, s0, 0, v3, s0
	v_add_co_u32 v2, s0, 0x1100, v2
	v_add_co_ci_u32_e64 v3, s0, 0, v3, s0
	s_clause 0x1
	global_load_dwordx4 v[140:143], v[0:1], off offset:256
	global_load_dwordx4 v[144:147], v[2:3], off offset:16
	s_waitcnt vmcnt(1) lgkmcnt(10)
	v_mul_f64 v[0:1], v[154:155], v[142:143]
	v_fma_f64 v[12:13], v[152:153], v[140:141], -v[0:1]
	v_mul_f64 v[0:1], v[152:153], v[142:143]
	v_fma_f64 v[14:15], v[154:155], v[140:141], v[0:1]
	s_waitcnt vmcnt(0) lgkmcnt(9)
	v_mul_f64 v[0:1], v[150:151], v[146:147]
	v_fma_f64 v[16:17], v[148:149], v[144:145], -v[0:1]
	v_mul_f64 v[0:1], v[148:149], v[146:147]
	v_fma_f64 v[18:19], v[150:151], v[144:145], v[0:1]
	v_add_nc_u32_e32 v0, 0xcc0, v20
	v_add_co_u32 v2, s0, s2, v0
	v_add_co_ci_u32_e64 v3, null, s3, 0, s0
	v_add_co_u32 v0, s0, 0x1000, v2
	v_add_co_ci_u32_e64 v1, s0, 0, v3, s0
	v_add_co_u32 v2, s0, 0x1100, v2
	v_add_co_ci_u32_e64 v3, s0, 0, v3, s0
	s_clause 0x1
	global_load_dwordx4 v[148:151], v[0:1], off offset:256
	global_load_dwordx4 v[152:155], v[2:3], off offset:16
	s_waitcnt vmcnt(1) lgkmcnt(7)
	v_mul_f64 v[0:1], v[170:171], v[150:151]
	v_fma_f64 v[226:227], v[168:169], v[148:149], -v[0:1]
	v_mul_f64 v[0:1], v[168:169], v[150:151]
	v_fma_f64 v[228:229], v[170:171], v[148:149], v[0:1]
	s_waitcnt vmcnt(0) lgkmcnt(6)
	v_mul_f64 v[0:1], v[166:167], v[154:155]
	v_fma_f64 v[230:231], v[164:165], v[152:153], -v[0:1]
	v_mul_f64 v[0:1], v[164:165], v[154:155]
	v_fma_f64 v[232:233], v[166:167], v[152:153], v[0:1]
	v_add_nc_u32_e32 v0, 0x1320, v20
	v_add_co_u32 v2, s0, s2, v0
	v_add_co_ci_u32_e64 v3, null, s3, 0, s0
	v_add_co_u32 v0, s0, 0x1000, v2
	v_add_co_ci_u32_e64 v1, s0, 0, v3, s0
	v_add_co_u32 v2, s0, 0x1100, v2
	v_add_co_ci_u32_e64 v3, s0, 0, v3, s0
	s_clause 0x1
	global_load_dwordx4 v[168:171], v[0:1], off offset:256
	global_load_dwordx4 v[164:167], v[2:3], off offset:16
	s_waitcnt vmcnt(1) lgkmcnt(4)
	v_mul_f64 v[0:1], v[178:179], v[170:171]
	v_fma_f64 v[234:235], v[176:177], v[168:169], -v[0:1]
	v_mul_f64 v[0:1], v[176:177], v[170:171]
	v_fma_f64 v[236:237], v[178:179], v[168:169], v[0:1]
	s_waitcnt vmcnt(0) lgkmcnt(3)
	v_mul_f64 v[0:1], v[174:175], v[166:167]
	v_fma_f64 v[238:239], v[172:173], v[164:165], -v[0:1]
	v_mul_f64 v[0:1], v[172:173], v[166:167]
	v_fma_f64 v[240:241], v[174:175], v[164:165], v[0:1]
	v_add_nc_u32_e32 v0, 0x1980, v20
	v_add_co_u32 v2, s0, s2, v0
	v_add_co_ci_u32_e64 v3, null, s3, 0, s0
	v_add_co_u32 v0, s0, 0x1000, v2
	v_add_co_ci_u32_e64 v1, s0, 0, v3, s0
	v_add_co_u32 v2, s0, 0x1100, v2
	v_add_co_ci_u32_e64 v3, s0, 0, v3, s0
	s_clause 0x1
	global_load_dwordx4 v[172:175], v[0:1], off offset:256
	global_load_dwordx4 v[176:179], v[2:3], off offset:16
	s_waitcnt vmcnt(1) lgkmcnt(1)
	v_mul_f64 v[0:1], v[162:163], v[174:175]
	v_fma_f64 v[242:243], v[160:161], v[172:173], -v[0:1]
	v_mul_f64 v[0:1], v[160:161], v[174:175]
	v_fma_f64 v[244:245], v[162:163], v[172:173], v[0:1]
	s_waitcnt vmcnt(0) lgkmcnt(0)
	v_mul_f64 v[0:1], v[158:159], v[178:179]
	v_fma_f64 v[248:249], v[156:157], v[176:177], -v[0:1]
	v_mul_f64 v[0:1], v[156:157], v[178:179]
	v_fma_f64 v[250:251], v[158:159], v[176:177], v[0:1]
	v_add_co_u32 v0, s0, 0xff, v21
	v_add_co_ci_u32_e64 v1, null, 0, 0, s0
	v_add_co_u32 v2, s0, 0xffffffde, v21
	v_add_co_ci_u32_e64 v3, null, 0, -1, s0
	v_cndmask_b32_e32 v0, v2, v0, vcc_lo
	v_cndmask_b32_e32 v1, v3, v1, vcc_lo
	v_lshlrev_b64 v[0:1], 5, v[0:1]
	v_add_co_u32 v2, s0, s2, v0
	v_add_co_ci_u32_e64 v3, s0, s3, v1, s0
	s_mov_b32 s3, 0xbfebb67a
	v_add_co_u32 v0, s0, 0x1000, v2
	v_add_co_ci_u32_e64 v1, s0, 0, v3, s0
	v_add_co_u32 v2, s0, 0x1100, v2
	v_add_co_ci_u32_e64 v3, s0, 0, v3, s0
	s_clause 0x1
	global_load_dwordx4 v[156:159], v[0:1], off offset:256
	global_load_dwordx4 v[160:163], v[2:3], off offset:16
	s_mov_b32 s0, 0xe8584caa
	s_mov_b32 s1, 0x3febb67a
	;; [unrolled: 1-line block ×3, first 2 shown]
	s_waitcnt vmcnt(1)
	v_mul_f64 v[0:1], v[182:183], v[158:159]
	v_mul_f64 v[2:3], v[180:181], v[158:159]
	v_fma_f64 v[0:1], v[180:181], v[156:157], -v[0:1]
	v_fma_f64 v[214:215], v[182:183], v[156:157], v[2:3]
	s_waitcnt vmcnt(0)
	v_mul_f64 v[2:3], v[210:211], v[162:163]
	v_mul_f64 v[180:181], v[208:209], v[162:163]
	v_fma_f64 v[2:3], v[208:209], v[160:161], -v[2:3]
	v_fma_f64 v[208:209], v[210:211], v[160:161], v[180:181]
	v_add_f64 v[180:181], v[4:5], v[8:9]
	v_fma_f64 v[210:211], v[180:181], -0.5, v[204:205]
	v_add_f64 v[180:181], v[6:7], v[10:11]
	v_add_f64 v[204:205], v[204:205], v[4:5]
	v_add_f64 v[4:5], v[4:5], -v[8:9]
	v_fma_f64 v[220:221], v[180:181], -0.5, v[206:207]
	v_add_f64 v[180:181], v[206:207], v[6:7]
	v_add_f64 v[6:7], v[6:7], -v[10:11]
	v_fma_f64 v[206:207], v[4:5], s[2:3], v[220:221]
	v_add_f64 v[182:183], v[180:181], v[10:11]
	v_add_f64 v[180:181], v[204:205], v[8:9]
	v_fma_f64 v[204:205], v[6:7], s[0:1], v[210:211]
	v_fma_f64 v[218:219], v[6:7], s[2:3], v[210:211]
	;; [unrolled: 1-line block ×3, first 2 shown]
	v_add_f64 v[4:5], v[12:13], v[16:17]
	v_add_f64 v[6:7], v[14:15], v[18:19]
	;; [unrolled: 1-line block ×3, first 2 shown]
	v_add_f64 v[14:15], v[14:15], -v[18:19]
	v_add_f64 v[10:11], v[200:201], v[12:13]
	ds_write_b128 v255, v[180:183]
	v_fma_f64 v[4:5], v[4:5], -0.5, v[200:201]
	v_fma_f64 v[6:7], v[6:7], -0.5, v[202:203]
	v_add_f64 v[182:183], v[8:9], v[18:19]
	v_add_f64 v[8:9], v[12:13], -v[16:17]
	v_add_f64 v[180:181], v[10:11], v[16:17]
	v_add_f64 v[10:11], v[196:197], v[226:227]
	v_add_f64 v[12:13], v[228:229], -v[232:233]
	v_fma_f64 v[200:201], v[14:15], s[0:1], v[4:5]
	v_fma_f64 v[222:223], v[14:15], s[2:3], v[4:5]
	v_add_f64 v[4:5], v[226:227], v[230:231]
	v_fma_f64 v[202:203], v[8:9], s[2:3], v[6:7]
	v_fma_f64 v[224:225], v[8:9], s[0:1], v[6:7]
	v_add_f64 v[6:7], v[228:229], v[232:233]
	v_add_f64 v[8:9], v[198:199], v[228:229]
	v_fma_f64 v[4:5], v[4:5], -0.5, v[196:197]
	v_add_f64 v[196:197], v[10:11], v[230:231]
	v_add_f64 v[10:11], v[192:193], v[234:235]
	v_fma_f64 v[6:7], v[6:7], -0.5, v[198:199]
	v_add_f64 v[198:199], v[8:9], v[232:233]
	v_add_f64 v[8:9], v[226:227], -v[230:231]
	v_fma_f64 v[226:227], v[12:13], s[0:1], v[4:5]
	v_fma_f64 v[230:231], v[12:13], s[2:3], v[4:5]
	v_add_f64 v[4:5], v[234:235], v[238:239]
	v_add_f64 v[12:13], v[236:237], -v[240:241]
	v_fma_f64 v[228:229], v[8:9], s[2:3], v[6:7]
	v_fma_f64 v[232:233], v[8:9], s[0:1], v[6:7]
	v_add_f64 v[6:7], v[236:237], v[240:241]
	v_add_f64 v[8:9], v[194:195], v[236:237]
	v_fma_f64 v[4:5], v[4:5], -0.5, v[192:193]
	v_add_f64 v[192:193], v[10:11], v[238:239]
	v_add_f64 v[10:11], v[188:189], v[242:243]
	v_fma_f64 v[6:7], v[6:7], -0.5, v[194:195]
	v_add_f64 v[194:195], v[8:9], v[240:241]
	v_add_f64 v[8:9], v[234:235], -v[238:239]
	v_fma_f64 v[234:235], v[12:13], s[0:1], v[4:5]
	v_fma_f64 v[238:239], v[12:13], s[2:3], v[4:5]
	v_add_f64 v[4:5], v[242:243], v[248:249]
	v_add_f64 v[12:13], v[244:245], -v[250:251]
	v_fma_f64 v[236:237], v[8:9], s[2:3], v[6:7]
	v_fma_f64 v[240:241], v[8:9], s[0:1], v[6:7]
	v_add_f64 v[6:7], v[244:245], v[250:251]
	v_add_f64 v[8:9], v[190:191], v[244:245]
	v_fma_f64 v[4:5], v[4:5], -0.5, v[188:189]
	v_add_f64 v[188:189], v[10:11], v[248:249]
	v_fma_f64 v[6:7], v[6:7], -0.5, v[190:191]
	v_add_f64 v[190:191], v[8:9], v[250:251]
	v_add_f64 v[8:9], v[242:243], -v[248:249]
	ds_write_b128 v255, v[180:183] offset:816
	ds_write_b128 v255, v[196:199] offset:1632
	;; [unrolled: 1-line block ×11, first 2 shown]
	v_fma_f64 v[248:249], v[12:13], s[0:1], v[4:5]
	v_fma_f64 v[242:243], v[12:13], s[2:3], v[4:5]
	v_add_f64 v[4:5], v[0:1], v[2:3]
	v_fma_f64 v[250:251], v[8:9], s[2:3], v[6:7]
	v_fma_f64 v[244:245], v[8:9], s[0:1], v[6:7]
	v_add_f64 v[6:7], v[214:215], v[208:209]
	v_add_f64 v[188:189], v[214:215], -v[208:209]
	v_add_f64 v[194:195], v[0:1], -v[2:3]
	ds_write_b128 v255, v[238:241] offset:11696
	v_fma_f64 v[190:191], v[4:5], -0.5, v[184:185]
	ds_write_b128 v255, v[248:251] offset:7888
	ds_write_b128 v255, v[242:245] offset:12512
	v_fma_f64 v[192:193], v[6:7], -0.5, v[186:187]
	v_fma_f64 v[180:181], v[188:189], s[2:3], v[190:191]
	v_fma_f64 v[182:183], v[194:195], s[0:1], v[192:193]
	s_and_saveexec_b32 s2, vcc_lo
	s_cbranch_execz .LBB0_5
; %bb.4:
	v_mul_f64 v[4:5], v[194:195], s[0:1]
	v_add_f64 v[6:7], v[186:187], v[214:215]
	v_add_f64 v[0:1], v[184:185], v[0:1]
	v_mul_f64 v[8:9], v[188:189], s[0:1]
	v_add_f64 v[186:187], v[192:193], -v[4:5]
	v_add_f64 v[194:195], v[6:7], v[208:209]
	v_add_f64 v[192:193], v[0:1], v[2:3]
	;; [unrolled: 1-line block ×3, first 2 shown]
	ds_write_b128 v255, v[192:195] offset:4080
	ds_write_b128 v255, v[184:187] offset:8704
	;; [unrolled: 1-line block ×3, first 2 shown]
.LBB0_5:
	s_or_b32 exec_lo, exec_lo, s2
	s_waitcnt lgkmcnt(0)
	s_barrier
	buffer_gl0_inv
	global_load_dwordx4 v[184:187], v[212:213], off offset:1584
	ds_read_b128 v[0:3], v255
	v_add_co_u32 v4, s0, 0x3630, v216
	v_add_co_ci_u32_e64 v5, s0, 0, v217, s0
	s_mov_b32 s44, 0x370991
	s_mov_b32 s30, 0x75d4884
	;; [unrolled: 1-line block ×45, first 2 shown]
	s_waitcnt vmcnt(0) lgkmcnt(0)
	v_mul_f64 v[6:7], v[2:3], v[186:187]
	v_fma_f64 v[188:189], v[0:1], v[184:185], -v[6:7]
	v_mul_f64 v[0:1], v[0:1], v[186:187]
	v_fma_f64 v[190:191], v[2:3], v[184:185], v[0:1]
	global_load_dwordx4 v[184:187], v[4:5], off offset:816
	ds_read_b128 v[0:3], v255 offset:816
	ds_write_b128 v255, v[188:191]
	s_waitcnt vmcnt(0) lgkmcnt(1)
	v_mul_f64 v[6:7], v[2:3], v[186:187]
	v_fma_f64 v[188:189], v[0:1], v[184:185], -v[6:7]
	v_mul_f64 v[0:1], v[0:1], v[186:187]
	v_fma_f64 v[190:191], v[2:3], v[184:185], v[0:1]
	global_load_dwordx4 v[184:187], v[4:5], off offset:1632
	ds_read_b128 v[0:3], v255 offset:1632
	ds_write_b128 v255, v[188:191] offset:816
	s_waitcnt vmcnt(0) lgkmcnt(1)
	v_mul_f64 v[4:5], v[2:3], v[186:187]
	v_fma_f64 v[188:189], v[0:1], v[184:185], -v[4:5]
	v_mul_f64 v[0:1], v[0:1], v[186:187]
	v_add_co_u32 v4, s0, 0x3800, v216
	v_add_co_ci_u32_e64 v5, s0, 0, v217, s0
	v_fma_f64 v[190:191], v[2:3], v[184:185], v[0:1]
	global_load_dwordx4 v[184:187], v[4:5], off offset:1984
	ds_read_b128 v[0:3], v255 offset:2448
	ds_write_b128 v255, v[188:191] offset:1632
	s_waitcnt vmcnt(0) lgkmcnt(1)
	v_mul_f64 v[4:5], v[2:3], v[186:187]
	v_fma_f64 v[188:189], v[0:1], v[184:185], -v[4:5]
	v_mul_f64 v[0:1], v[0:1], v[186:187]
	v_add_co_u32 v4, s0, 0x4000, v216
	v_add_co_ci_u32_e64 v5, s0, 0, v217, s0
	v_fma_f64 v[190:191], v[2:3], v[184:185], v[0:1]
	global_load_dwordx4 v[184:187], v[4:5], off offset:752
	ds_read_b128 v[0:3], v255 offset:3264
	ds_write_b128 v255, v[188:191] offset:2448
	s_waitcnt vmcnt(0) lgkmcnt(1)
	v_mul_f64 v[6:7], v[2:3], v[186:187]
	v_fma_f64 v[188:189], v[0:1], v[184:185], -v[6:7]
	v_mul_f64 v[0:1], v[0:1], v[186:187]
	v_fma_f64 v[190:191], v[2:3], v[184:185], v[0:1]
	global_load_dwordx4 v[184:187], v[4:5], off offset:1568
	ds_read_b128 v[0:3], v255 offset:4080
	ds_write_b128 v255, v[188:191] offset:3264
	s_waitcnt vmcnt(0) lgkmcnt(1)
	v_mul_f64 v[4:5], v[2:3], v[186:187]
	v_fma_f64 v[188:189], v[0:1], v[184:185], -v[4:5]
	v_mul_f64 v[0:1], v[0:1], v[186:187]
	v_add_co_u32 v4, s0, 0x4800, v216
	v_add_co_ci_u32_e64 v5, s0, 0, v217, s0
	v_fma_f64 v[190:191], v[2:3], v[184:185], v[0:1]
	global_load_dwordx4 v[184:187], v[4:5], off offset:336
	ds_read_b128 v[0:3], v255 offset:4896
	ds_write_b128 v255, v[188:191] offset:4080
	s_waitcnt vmcnt(0) lgkmcnt(1)
	v_mul_f64 v[6:7], v[2:3], v[186:187]
	v_fma_f64 v[188:189], v[0:1], v[184:185], -v[6:7]
	v_mul_f64 v[0:1], v[0:1], v[186:187]
	v_fma_f64 v[190:191], v[2:3], v[184:185], v[0:1]
	global_load_dwordx4 v[184:187], v[4:5], off offset:1152
	ds_read_b128 v[0:3], v255 offset:5712
	ds_write_b128 v255, v[188:191] offset:4896
	s_waitcnt vmcnt(0) lgkmcnt(1)
	v_mul_f64 v[6:7], v[2:3], v[186:187]
	v_fma_f64 v[188:189], v[0:1], v[184:185], -v[6:7]
	v_mul_f64 v[0:1], v[0:1], v[186:187]
	;; [unrolled: 8-line block ×3, first 2 shown]
	v_add_co_u32 v4, s0, 0x5000, v216
	v_add_co_ci_u32_e64 v5, s0, 0, v217, s0
	v_fma_f64 v[190:191], v[2:3], v[184:185], v[0:1]
	global_load_dwordx4 v[184:187], v[4:5], off offset:736
	ds_read_b128 v[0:3], v255 offset:7344
	ds_write_b128 v255, v[188:191] offset:6528
	s_waitcnt vmcnt(0) lgkmcnt(1)
	v_mul_f64 v[6:7], v[2:3], v[186:187]
	v_fma_f64 v[188:189], v[0:1], v[184:185], -v[6:7]
	v_mul_f64 v[0:1], v[0:1], v[186:187]
	v_fma_f64 v[190:191], v[2:3], v[184:185], v[0:1]
	global_load_dwordx4 v[184:187], v[4:5], off offset:1552
	ds_read_b128 v[0:3], v255 offset:8160
	ds_write_b128 v255, v[188:191] offset:7344
	s_waitcnt vmcnt(0) lgkmcnt(1)
	v_mul_f64 v[4:5], v[2:3], v[186:187]
	v_fma_f64 v[188:189], v[0:1], v[184:185], -v[4:5]
	v_mul_f64 v[0:1], v[0:1], v[186:187]
	v_add_co_u32 v4, s0, 0x5800, v216
	v_add_co_ci_u32_e64 v5, s0, 0, v217, s0
	v_fma_f64 v[190:191], v[2:3], v[184:185], v[0:1]
	global_load_dwordx4 v[184:187], v[4:5], off offset:320
	ds_read_b128 v[0:3], v255 offset:8976
	ds_write_b128 v255, v[188:191] offset:8160
	s_waitcnt vmcnt(0) lgkmcnt(1)
	v_mul_f64 v[6:7], v[2:3], v[186:187]
	v_fma_f64 v[188:189], v[0:1], v[184:185], -v[6:7]
	v_mul_f64 v[0:1], v[0:1], v[186:187]
	v_fma_f64 v[190:191], v[2:3], v[184:185], v[0:1]
	global_load_dwordx4 v[184:187], v[4:5], off offset:1136
	ds_read_b128 v[0:3], v255 offset:9792
	ds_write_b128 v255, v[188:191] offset:8976
	s_waitcnt vmcnt(0) lgkmcnt(1)
	v_mul_f64 v[6:7], v[2:3], v[186:187]
	v_fma_f64 v[188:189], v[0:1], v[184:185], -v[6:7]
	v_mul_f64 v[0:1], v[0:1], v[186:187]
	;; [unrolled: 8-line block ×3, first 2 shown]
	v_add_co_u32 v4, s0, 0x6000, v216
	v_add_co_ci_u32_e64 v5, s0, 0, v217, s0
	v_fma_f64 v[190:191], v[2:3], v[184:185], v[0:1]
	global_load_dwordx4 v[184:187], v[4:5], off offset:720
	ds_read_b128 v[0:3], v255 offset:11424
	ds_write_b128 v255, v[188:191] offset:10608
	s_waitcnt vmcnt(0) lgkmcnt(1)
	v_mul_f64 v[6:7], v[2:3], v[186:187]
	v_fma_f64 v[188:189], v[0:1], v[184:185], -v[6:7]
	v_mul_f64 v[0:1], v[0:1], v[186:187]
	v_fma_f64 v[190:191], v[2:3], v[184:185], v[0:1]
	global_load_dwordx4 v[184:187], v[4:5], off offset:1536
	ds_read_b128 v[0:3], v255 offset:12240
	ds_write_b128 v255, v[188:191] offset:11424
	s_waitcnt vmcnt(0) lgkmcnt(1)
	v_mul_f64 v[4:5], v[2:3], v[186:187]
	v_fma_f64 v[188:189], v[0:1], v[184:185], -v[4:5]
	v_mul_f64 v[0:1], v[0:1], v[186:187]
	v_add_co_u32 v4, s0, 0x6800, v216
	v_add_co_ci_u32_e64 v5, s0, 0, v217, s0
	s_mov_b32 s0, s8
	v_fma_f64 v[190:191], v[2:3], v[184:185], v[0:1]
	global_load_dwordx4 v[184:187], v[4:5], off offset:304
	ds_read_b128 v[0:3], v255 offset:13056
	ds_write_b128 v255, v[188:191] offset:12240
	s_waitcnt vmcnt(0) lgkmcnt(1)
	v_mul_f64 v[4:5], v[2:3], v[186:187]
	v_fma_f64 v[188:189], v[0:1], v[184:185], -v[4:5]
	v_mul_f64 v[0:1], v[0:1], v[186:187]
	v_fma_f64 v[190:191], v[2:3], v[184:185], v[0:1]
	ds_write_b128 v255, v[188:191] offset:13056
	s_waitcnt lgkmcnt(0)
	s_barrier
	buffer_gl0_inv
	ds_read_b128 v[0:3], v255
	ds_read_b128 v[228:231], v255 offset:816
	ds_read_b128 v[232:235], v255 offset:1632
	;; [unrolled: 1-line block ×16, first 2 shown]
	s_waitcnt lgkmcnt(0)
	s_barrier
	buffer_gl0_inv
	v_add_f64 v[10:11], v[2:3], v[230:231]
	v_add_f64 v[8:9], v[0:1], v[228:229]
	;; [unrolled: 1-line block ×34, first 2 shown]
	v_add_f64 v[4:5], v[228:229], -v[4:5]
	v_add_f64 v[6:7], v[230:231], -v[6:7]
	v_mul_f64 v[16:17], v[10:11], s[44:45]
	v_mul_f64 v[244:245], v[10:11], s[30:31]
	;; [unrolled: 1-line block ×16, first 2 shown]
	v_fma_f64 v[18:19], v[4:5], s[46:47], v[16:17]
	v_fma_f64 v[16:17], v[4:5], s[48:49], v[16:17]
	;; [unrolled: 1-line block ×16, first 2 shown]
	v_add_f64 v[10:11], v[234:235], -v[250:251]
	v_fma_f64 v[14:15], v[8:9], s[44:45], v[12:13]
	v_fma_f64 v[12:13], v[8:9], s[44:45], -v[12:13]
	v_fma_f64 v[230:231], v[8:9], s[30:31], v[228:229]
	v_fma_f64 v[228:229], v[8:9], s[30:31], -v[228:229]
	v_fma_f64 v[22:23], v[8:9], s[18:19], v[20:21]
	v_add_f64 v[18:19], v[2:3], v[18:19]
	v_add_f64 v[16:17], v[2:3], v[16:17]
	;; [unrolled: 1-line block ×5, first 2 shown]
	v_fma_f64 v[20:21], v[8:9], s[18:19], -v[20:21]
	v_add_f64 v[24:25], v[2:3], v[24:25]
	v_fma_f64 v[30:31], v[8:9], s[2:3], v[28:29]
	v_add_f64 v[34:35], v[2:3], v[34:35]
	v_fma_f64 v[28:29], v[8:9], s[2:3], -v[28:29]
	v_add_f64 v[32:33], v[2:3], v[32:33]
	v_fma_f64 v[38:39], v[8:9], s[14:15], v[36:37]
	v_add_f64 v[42:43], v[2:3], v[42:43]
	;; [unrolled: 4-line block ×5, first 2 shown]
	v_fma_f64 v[6:7], v[8:9], s[52:53], -v[6:7]
	v_add_f64 v[2:3], v[2:3], v[4:5]
	v_add_f64 v[4:5], v[232:233], v[248:249]
	v_add_f64 v[8:9], v[232:233], -v[248:249]
	v_mul_f64 v[232:233], v[10:11], s[36:37]
	v_add_f64 v[14:15], v[0:1], v[14:15]
	v_add_f64 v[12:13], v[0:1], v[12:13]
	;; [unrolled: 1-line block ×17, first 2 shown]
	v_fma_f64 v[234:235], v[4:5], s[30:31], v[232:233]
	v_fma_f64 v[232:233], v[4:5], s[30:31], -v[232:233]
	v_add_f64 v[14:15], v[234:235], v[14:15]
	v_mul_f64 v[234:235], v[6:7], s[30:31]
	v_add_f64 v[12:13], v[232:233], v[12:13]
	v_fma_f64 v[232:233], v[8:9], s[36:37], v[234:235]
	v_fma_f64 v[248:249], v[8:9], s[34:35], v[234:235]
	v_add_f64 v[16:17], v[232:233], v[16:17]
	v_mul_f64 v[232:233], v[10:11], s[8:9]
	v_add_f64 v[18:19], v[248:249], v[18:19]
	v_fma_f64 v[234:235], v[4:5], s[2:3], v[232:233]
	v_fma_f64 v[232:233], v[4:5], s[2:3], -v[232:233]
	v_add_f64 v[230:231], v[234:235], v[230:231]
	v_mul_f64 v[234:235], v[6:7], s[2:3]
	v_add_f64 v[228:229], v[232:233], v[228:229]
	v_fma_f64 v[248:249], v[8:9], s[0:1], v[234:235]
	v_fma_f64 v[232:233], v[8:9], s[8:9], v[234:235]
	v_mul_f64 v[234:235], v[10:11], s[24:25]
	v_add_f64 v[248:249], v[248:249], v[252:253]
	v_add_f64 v[232:233], v[232:233], v[244:245]
	v_fma_f64 v[244:245], v[4:5], s[26:27], v[234:235]
	v_fma_f64 v[234:235], v[4:5], s[26:27], -v[234:235]
	v_add_f64 v[22:23], v[244:245], v[22:23]
	v_mul_f64 v[244:245], v[6:7], s[26:27]
	v_add_f64 v[20:21], v[234:235], v[20:21]
	v_fma_f64 v[234:235], v[8:9], s[24:25], v[244:245]
	v_fma_f64 v[250:251], v[8:9], s[28:29], v[244:245]
	v_add_f64 v[24:25], v[234:235], v[24:25]
	v_mul_f64 v[234:235], v[10:11], s[50:51]
	v_add_f64 v[26:27], v[250:251], v[26:27]
	v_fma_f64 v[244:245], v[4:5], s[52:53], v[234:235]
	v_fma_f64 v[234:235], v[4:5], s[52:53], -v[234:235]
	v_add_f64 v[30:31], v[244:245], v[30:31]
	v_mul_f64 v[244:245], v[6:7], s[52:53]
	v_add_f64 v[28:29], v[234:235], v[28:29]
	v_fma_f64 v[234:235], v[8:9], s[50:51], v[244:245]
	v_fma_f64 v[250:251], v[8:9], s[54:55], v[244:245]
	v_add_f64 v[32:33], v[234:235], v[32:33]
	v_mul_f64 v[234:235], v[10:11], s[42:43]
	;; [unrolled: 10-line block ×4, first 2 shown]
	v_mul_f64 v[10:11], v[10:11], s[46:47]
	v_add_f64 v[50:51], v[250:251], v[50:51]
	v_fma_f64 v[244:245], v[4:5], s[18:19], v[234:235]
	v_fma_f64 v[234:235], v[4:5], s[18:19], -v[234:235]
	v_add_f64 v[54:55], v[244:245], v[54:55]
	v_mul_f64 v[244:245], v[6:7], s[18:19]
	v_add_f64 v[52:53], v[234:235], v[52:53]
	v_mul_f64 v[6:7], v[6:7], s[44:45]
	v_fma_f64 v[234:235], v[8:9], s[20:21], v[244:245]
	v_fma_f64 v[250:251], v[8:9], s[22:23], v[244:245]
	v_add_f64 v[56:57], v[234:235], v[56:57]
	v_fma_f64 v[234:235], v[4:5], s[44:45], v[10:11]
	v_fma_f64 v[4:5], v[4:5], s[44:45], -v[10:11]
	v_add_f64 v[10:11], v[238:239], -v[242:243]
	v_add_f64 v[58:59], v[250:251], v[58:59]
	v_add_f64 v[60:61], v[234:235], v[60:61]
	v_fma_f64 v[234:235], v[8:9], s[48:49], v[6:7]
	v_add_f64 v[0:1], v[4:5], v[0:1]
	v_fma_f64 v[4:5], v[8:9], s[46:47], v[6:7]
	v_add_f64 v[6:7], v[238:239], v[242:243]
	v_add_f64 v[8:9], v[236:237], -v[240:241]
	v_add_f64 v[62:63], v[234:235], v[62:63]
	v_mul_f64 v[234:235], v[10:11], s[22:23]
	v_add_f64 v[2:3], v[4:5], v[2:3]
	v_add_f64 v[4:5], v[236:237], v[240:241]
	v_fma_f64 v[236:237], v[4:5], s[18:19], v[234:235]
	v_fma_f64 v[234:235], v[4:5], s[18:19], -v[234:235]
	v_add_f64 v[14:15], v[236:237], v[14:15]
	v_mul_f64 v[236:237], v[6:7], s[18:19]
	v_add_f64 v[12:13], v[234:235], v[12:13]
	v_fma_f64 v[234:235], v[8:9], s[22:23], v[236:237]
	v_fma_f64 v[238:239], v[8:9], s[20:21], v[236:237]
	v_add_f64 v[16:17], v[234:235], v[16:17]
	v_mul_f64 v[234:235], v[10:11], s[24:25]
	v_add_f64 v[18:19], v[238:239], v[18:19]
	v_fma_f64 v[236:237], v[4:5], s[26:27], v[234:235]
	v_fma_f64 v[234:235], v[4:5], s[26:27], -v[234:235]
	v_add_f64 v[230:231], v[236:237], v[230:231]
	v_mul_f64 v[236:237], v[6:7], s[26:27]
	v_add_f64 v[228:229], v[234:235], v[228:229]
	v_fma_f64 v[234:235], v[8:9], s[24:25], v[236:237]
	v_fma_f64 v[238:239], v[8:9], s[28:29], v[236:237]
	v_add_f64 v[232:233], v[234:235], v[232:233]
	v_mul_f64 v[234:235], v[10:11], s[54:55]
	;; [unrolled: 10-line block ×6, first 2 shown]
	v_mul_f64 v[10:11], v[10:11], s[38:39]
	v_add_f64 v[50:51], v[240:241], v[50:51]
	v_fma_f64 v[236:237], v[4:5], s[2:3], v[234:235]
	v_fma_f64 v[234:235], v[4:5], s[2:3], -v[234:235]
	v_add_f64 v[54:55], v[236:237], v[54:55]
	v_mul_f64 v[236:237], v[6:7], s[2:3]
	v_add_f64 v[52:53], v[234:235], v[52:53]
	v_mul_f64 v[6:7], v[6:7], s[40:41]
	v_fma_f64 v[234:235], v[8:9], s[8:9], v[236:237]
	v_fma_f64 v[240:241], v[8:9], s[0:1], v[236:237]
	v_add_f64 v[56:57], v[234:235], v[56:57]
	v_fma_f64 v[234:235], v[4:5], s[40:41], v[10:11]
	v_fma_f64 v[4:5], v[4:5], s[40:41], -v[10:11]
	v_add_f64 v[10:11], v[222:223], -v[226:227]
	v_add_f64 v[58:59], v[240:241], v[58:59]
	v_add_f64 v[240:241], v[190:191], -v[194:195]
	v_add_f64 v[60:61], v[234:235], v[60:61]
	v_add_f64 v[0:1], v[4:5], v[0:1]
	v_fma_f64 v[4:5], v[8:9], s[38:39], v[6:7]
	v_fma_f64 v[234:235], v[8:9], s[42:43], v[6:7]
	v_add_f64 v[8:9], v[220:221], -v[224:225]
	v_add_f64 v[6:7], v[222:223], v[226:227]
	v_add_f64 v[2:3], v[4:5], v[2:3]
	;; [unrolled: 1-line block ×3, first 2 shown]
	v_mul_f64 v[220:221], v[10:11], s[8:9]
	v_add_f64 v[62:63], v[234:235], v[62:63]
	v_fma_f64 v[222:223], v[4:5], s[2:3], v[220:221]
	v_fma_f64 v[220:221], v[4:5], s[2:3], -v[220:221]
	v_add_f64 v[14:15], v[222:223], v[14:15]
	v_mul_f64 v[222:223], v[6:7], s[2:3]
	v_add_f64 v[12:13], v[220:221], v[12:13]
	v_fma_f64 v[220:221], v[8:9], s[8:9], v[222:223]
	v_fma_f64 v[224:225], v[8:9], s[0:1], v[222:223]
	v_add_f64 v[16:17], v[220:221], v[16:17]
	v_mul_f64 v[220:221], v[10:11], s[50:51]
	v_add_f64 v[18:19], v[224:225], v[18:19]
	v_mul_f64 v[224:225], v[6:7], s[52:53]
	v_fma_f64 v[222:223], v[4:5], s[52:53], v[220:221]
	v_fma_f64 v[220:221], v[4:5], s[52:53], -v[220:221]
	v_fma_f64 v[226:227], v[8:9], s[54:55], v[224:225]
	v_fma_f64 v[224:225], v[8:9], s[50:51], v[224:225]
	v_add_f64 v[222:223], v[222:223], v[230:231]
	v_add_f64 v[220:221], v[220:221], v[228:229]
	v_mul_f64 v[228:229], v[10:11], s[16:17]
	v_add_f64 v[224:225], v[224:225], v[232:233]
	v_add_f64 v[226:227], v[226:227], v[238:239]
	;; [unrolled: 1-line block ×3, first 2 shown]
	v_fma_f64 v[230:231], v[4:5], s[14:15], v[228:229]
	v_fma_f64 v[228:229], v[4:5], s[14:15], -v[228:229]
	v_add_f64 v[22:23], v[230:231], v[22:23]
	v_mul_f64 v[230:231], v[6:7], s[14:15]
	v_add_f64 v[20:21], v[228:229], v[20:21]
	v_fma_f64 v[228:229], v[8:9], s[16:17], v[230:231]
	v_fma_f64 v[232:233], v[8:9], s[10:11], v[230:231]
	v_add_f64 v[24:25], v[228:229], v[24:25]
	v_mul_f64 v[228:229], v[10:11], s[46:47]
	v_add_f64 v[26:27], v[232:233], v[26:27]
	v_fma_f64 v[230:231], v[4:5], s[44:45], v[228:229]
	v_fma_f64 v[228:229], v[4:5], s[44:45], -v[228:229]
	v_add_f64 v[30:31], v[230:231], v[30:31]
	v_mul_f64 v[230:231], v[6:7], s[44:45]
	v_add_f64 v[28:29], v[228:229], v[28:29]
	v_fma_f64 v[228:229], v[8:9], s[46:47], v[230:231]
	v_fma_f64 v[232:233], v[8:9], s[48:49], v[230:231]
	v_add_f64 v[32:33], v[228:229], v[32:33]
	v_mul_f64 v[228:229], v[10:11], s[22:23]
	v_add_f64 v[34:35], v[232:233], v[34:35]
	v_fma_f64 v[230:231], v[4:5], s[18:19], v[228:229]
	v_fma_f64 v[228:229], v[4:5], s[18:19], -v[228:229]
	v_add_f64 v[38:39], v[230:231], v[38:39]
	v_mul_f64 v[230:231], v[6:7], s[18:19]
	v_add_f64 v[36:37], v[228:229], v[36:37]
	v_fma_f64 v[228:229], v[8:9], s[22:23], v[230:231]
	v_fma_f64 v[232:233], v[8:9], s[20:21], v[230:231]
	v_add_f64 v[40:41], v[228:229], v[40:41]
	v_mul_f64 v[228:229], v[10:11], s[38:39]
	v_add_f64 v[42:43], v[232:233], v[42:43]
	v_fma_f64 v[230:231], v[4:5], s[40:41], v[228:229]
	v_fma_f64 v[228:229], v[4:5], s[40:41], -v[228:229]
	v_add_f64 v[46:47], v[230:231], v[46:47]
	v_mul_f64 v[230:231], v[6:7], s[40:41]
	v_add_f64 v[44:45], v[228:229], v[44:45]
	v_fma_f64 v[228:229], v[8:9], s[38:39], v[230:231]
	v_fma_f64 v[232:233], v[8:9], s[42:43], v[230:231]
	v_add_f64 v[48:49], v[228:229], v[48:49]
	v_mul_f64 v[228:229], v[10:11], s[28:29]
	v_mul_f64 v[10:11], v[10:11], s[34:35]
	v_add_f64 v[50:51], v[232:233], v[50:51]
	v_fma_f64 v[230:231], v[4:5], s[26:27], v[228:229]
	v_fma_f64 v[228:229], v[4:5], s[26:27], -v[228:229]
	v_add_f64 v[54:55], v[230:231], v[54:55]
	v_mul_f64 v[230:231], v[6:7], s[26:27]
	v_add_f64 v[52:53], v[228:229], v[52:53]
	v_mul_f64 v[6:7], v[6:7], s[30:31]
	v_fma_f64 v[228:229], v[8:9], s[28:29], v[230:231]
	v_fma_f64 v[232:233], v[8:9], s[24:25], v[230:231]
	v_add_f64 v[56:57], v[228:229], v[56:57]
	v_fma_f64 v[228:229], v[4:5], s[30:31], v[10:11]
	v_fma_f64 v[4:5], v[4:5], s[30:31], -v[10:11]
	v_add_f64 v[10:11], v[214:215], -v[218:219]
	v_add_f64 v[58:59], v[232:233], v[58:59]
	v_add_f64 v[60:61], v[228:229], v[60:61]
	;; [unrolled: 1-line block ×3, first 2 shown]
	v_fma_f64 v[4:5], v[8:9], s[34:35], v[6:7]
	v_fma_f64 v[228:229], v[8:9], s[36:37], v[6:7]
	v_add_f64 v[8:9], v[212:213], -v[216:217]
	v_add_f64 v[6:7], v[214:215], v[218:219]
	v_add_f64 v[2:3], v[4:5], v[2:3]
	;; [unrolled: 1-line block ×3, first 2 shown]
	v_mul_f64 v[212:213], v[10:11], s[10:11]
	v_add_f64 v[62:63], v[228:229], v[62:63]
	v_fma_f64 v[214:215], v[4:5], s[14:15], v[212:213]
	v_fma_f64 v[212:213], v[4:5], s[14:15], -v[212:213]
	v_add_f64 v[14:15], v[214:215], v[14:15]
	v_mul_f64 v[214:215], v[6:7], s[14:15]
	v_add_f64 v[12:13], v[212:213], v[12:13]
	v_fma_f64 v[212:213], v[8:9], s[10:11], v[214:215]
	v_fma_f64 v[216:217], v[8:9], s[16:17], v[214:215]
	v_add_f64 v[16:17], v[212:213], v[16:17]
	v_mul_f64 v[212:213], v[10:11], s[42:43]
	v_add_f64 v[18:19], v[216:217], v[18:19]
	v_mul_f64 v[216:217], v[6:7], s[40:41]
	v_fma_f64 v[214:215], v[4:5], s[40:41], v[212:213]
	v_fma_f64 v[212:213], v[4:5], s[40:41], -v[212:213]
	v_fma_f64 v[218:219], v[8:9], s[38:39], v[216:217]
	v_fma_f64 v[216:217], v[8:9], s[42:43], v[216:217]
	v_add_f64 v[214:215], v[214:215], v[222:223]
	v_add_f64 v[212:213], v[212:213], v[220:221]
	v_mul_f64 v[220:221], v[10:11], s[34:35]
	v_add_f64 v[216:217], v[216:217], v[224:225]
	v_add_f64 v[218:219], v[218:219], v[226:227]
	v_fma_f64 v[222:223], v[4:5], s[30:31], v[220:221]
	v_fma_f64 v[220:221], v[4:5], s[30:31], -v[220:221]
	v_add_f64 v[22:23], v[222:223], v[22:23]
	v_mul_f64 v[222:223], v[6:7], s[30:31]
	v_add_f64 v[20:21], v[220:221], v[20:21]
	v_fma_f64 v[220:221], v[8:9], s[34:35], v[222:223]
	v_fma_f64 v[224:225], v[8:9], s[36:37], v[222:223]
	v_add_f64 v[24:25], v[220:221], v[24:25]
	v_mul_f64 v[220:221], v[10:11], s[22:23]
	v_add_f64 v[26:27], v[224:225], v[26:27]
	v_fma_f64 v[222:223], v[4:5], s[18:19], v[220:221]
	v_fma_f64 v[220:221], v[4:5], s[18:19], -v[220:221]
	v_add_f64 v[30:31], v[222:223], v[30:31]
	v_mul_f64 v[222:223], v[6:7], s[18:19]
	v_add_f64 v[28:29], v[220:221], v[28:29]
	v_fma_f64 v[220:221], v[8:9], s[22:23], v[222:223]
	v_fma_f64 v[224:225], v[8:9], s[20:21], v[222:223]
	v_add_f64 v[32:33], v[220:221], v[32:33]
	v_mul_f64 v[220:221], v[10:11], s[50:51]
	;; [unrolled: 10-line block ×4, first 2 shown]
	v_mul_f64 v[10:11], v[10:11], s[24:25]
	v_add_f64 v[50:51], v[224:225], v[50:51]
	v_fma_f64 v[222:223], v[4:5], s[44:45], v[220:221]
	v_fma_f64 v[220:221], v[4:5], s[44:45], -v[220:221]
	v_add_f64 v[54:55], v[222:223], v[54:55]
	v_mul_f64 v[222:223], v[6:7], s[44:45]
	v_add_f64 v[52:53], v[220:221], v[52:53]
	v_mul_f64 v[6:7], v[6:7], s[26:27]
	v_fma_f64 v[220:221], v[8:9], s[48:49], v[222:223]
	v_fma_f64 v[224:225], v[8:9], s[46:47], v[222:223]
	v_add_f64 v[56:57], v[220:221], v[56:57]
	v_fma_f64 v[220:221], v[4:5], s[26:27], v[10:11]
	v_fma_f64 v[4:5], v[4:5], s[26:27], -v[10:11]
	v_add_f64 v[10:11], v[206:207], -v[210:211]
	v_add_f64 v[58:59], v[224:225], v[58:59]
	v_add_f64 v[60:61], v[220:221], v[60:61]
	;; [unrolled: 1-line block ×3, first 2 shown]
	v_fma_f64 v[4:5], v[8:9], s[24:25], v[6:7]
	v_fma_f64 v[220:221], v[8:9], s[28:29], v[6:7]
	v_add_f64 v[8:9], v[204:205], -v[208:209]
	v_add_f64 v[6:7], v[206:207], v[210:211]
	v_add_f64 v[2:3], v[4:5], v[2:3]
	;; [unrolled: 1-line block ×3, first 2 shown]
	v_mul_f64 v[204:205], v[10:11], s[24:25]
	v_add_f64 v[62:63], v[220:221], v[62:63]
	v_fma_f64 v[206:207], v[4:5], s[26:27], v[204:205]
	v_fma_f64 v[204:205], v[4:5], s[26:27], -v[204:205]
	v_add_f64 v[14:15], v[206:207], v[14:15]
	v_mul_f64 v[206:207], v[6:7], s[26:27]
	v_add_f64 v[12:13], v[204:205], v[12:13]
	v_fma_f64 v[204:205], v[8:9], s[24:25], v[206:207]
	v_fma_f64 v[208:209], v[8:9], s[28:29], v[206:207]
	v_add_f64 v[16:17], v[204:205], v[16:17]
	v_mul_f64 v[204:205], v[10:11], s[16:17]
	v_add_f64 v[18:19], v[208:209], v[18:19]
	v_mul_f64 v[208:209], v[6:7], s[14:15]
	v_fma_f64 v[206:207], v[4:5], s[14:15], v[204:205]
	v_fma_f64 v[204:205], v[4:5], s[14:15], -v[204:205]
	v_fma_f64 v[210:211], v[8:9], s[10:11], v[208:209]
	v_add_f64 v[206:207], v[206:207], v[214:215]
	v_add_f64 v[212:213], v[204:205], v[212:213]
	v_fma_f64 v[204:205], v[8:9], s[16:17], v[208:209]
	v_add_f64 v[210:211], v[210:211], v[218:219]
	v_add_f64 v[208:209], v[204:205], v[216:217]
	v_mul_f64 v[204:205], v[10:11], s[48:49]
	v_fma_f64 v[214:215], v[4:5], s[44:45], v[204:205]
	v_fma_f64 v[204:205], v[4:5], s[44:45], -v[204:205]
	v_add_f64 v[22:23], v[214:215], v[22:23]
	v_mul_f64 v[214:215], v[6:7], s[44:45]
	v_add_f64 v[20:21], v[204:205], v[20:21]
	v_fma_f64 v[204:205], v[8:9], s[48:49], v[214:215]
	v_fma_f64 v[216:217], v[8:9], s[46:47], v[214:215]
	v_add_f64 v[24:25], v[204:205], v[24:25]
	v_mul_f64 v[204:205], v[10:11], s[38:39]
	v_add_f64 v[26:27], v[216:217], v[26:27]
	v_fma_f64 v[214:215], v[4:5], s[40:41], v[204:205]
	v_fma_f64 v[204:205], v[4:5], s[40:41], -v[204:205]
	v_add_f64 v[30:31], v[214:215], v[30:31]
	v_mul_f64 v[214:215], v[6:7], s[40:41]
	v_add_f64 v[28:29], v[204:205], v[28:29]
	v_fma_f64 v[204:205], v[8:9], s[38:39], v[214:215]
	v_fma_f64 v[216:217], v[8:9], s[42:43], v[214:215]
	v_add_f64 v[32:33], v[204:205], v[32:33]
	v_mul_f64 v[204:205], v[10:11], s[0:1]
	v_add_f64 v[34:35], v[216:217], v[34:35]
	;; [unrolled: 10-line block ×3, first 2 shown]
	v_fma_f64 v[214:215], v[4:5], s[30:31], v[204:205]
	v_fma_f64 v[204:205], v[4:5], s[30:31], -v[204:205]
	v_add_f64 v[46:47], v[214:215], v[46:47]
	v_mul_f64 v[214:215], v[6:7], s[30:31]
	v_add_f64 v[44:45], v[204:205], v[44:45]
	v_fma_f64 v[204:205], v[8:9], s[36:37], v[214:215]
	v_fma_f64 v[216:217], v[8:9], s[34:35], v[214:215]
	v_add_f64 v[48:49], v[204:205], v[48:49]
	v_mul_f64 v[204:205], v[10:11], s[50:51]
	v_mul_f64 v[10:11], v[10:11], s[20:21]
	v_add_f64 v[50:51], v[216:217], v[50:51]
	v_fma_f64 v[214:215], v[4:5], s[52:53], v[204:205]
	v_fma_f64 v[204:205], v[4:5], s[52:53], -v[204:205]
	v_add_f64 v[54:55], v[214:215], v[54:55]
	v_mul_f64 v[214:215], v[6:7], s[52:53]
	v_add_f64 v[52:53], v[204:205], v[52:53]
	v_mul_f64 v[6:7], v[6:7], s[18:19]
	v_fma_f64 v[204:205], v[8:9], s[50:51], v[214:215]
	v_fma_f64 v[216:217], v[8:9], s[54:55], v[214:215]
	v_add_f64 v[56:57], v[204:205], v[56:57]
	v_fma_f64 v[204:205], v[4:5], s[18:19], v[10:11]
	v_fma_f64 v[4:5], v[4:5], s[18:19], -v[10:11]
	v_add_f64 v[10:11], v[198:199], -v[202:203]
	v_add_f64 v[58:59], v[216:217], v[58:59]
	v_add_f64 v[60:61], v[204:205], v[60:61]
	;; [unrolled: 1-line block ×3, first 2 shown]
	v_fma_f64 v[4:5], v[8:9], s[20:21], v[6:7]
	v_fma_f64 v[204:205], v[8:9], s[22:23], v[6:7]
	v_add_f64 v[6:7], v[198:199], v[202:203]
	v_mul_f64 v[198:199], v[10:11], s[38:39]
	v_add_f64 v[8:9], v[196:197], -v[200:201]
	v_add_f64 v[2:3], v[4:5], v[2:3]
	v_add_f64 v[4:5], v[196:197], v[200:201]
	v_add_f64 v[62:63], v[204:205], v[62:63]
	v_fma_f64 v[196:197], v[4:5], s[40:41], v[198:199]
	v_add_f64 v[196:197], v[196:197], v[14:15]
	v_mul_f64 v[14:15], v[6:7], s[40:41]
	v_fma_f64 v[200:201], v[8:9], s[42:43], v[14:15]
	v_add_f64 v[253:254], v[200:201], v[18:19]
	v_fma_f64 v[18:19], v[4:5], s[40:41], -v[198:199]
	v_add_f64 v[200:201], v[18:19], v[12:13]
	v_fma_f64 v[12:13], v[8:9], s[38:39], v[14:15]
	v_add_f64 v[198:199], v[12:13], v[16:17]
	v_mul_f64 v[12:13], v[10:11], s[20:21]
	v_fma_f64 v[14:15], v[4:5], s[18:19], v[12:13]
	v_fma_f64 v[12:13], v[4:5], s[18:19], -v[12:13]
	v_add_f64 v[202:203], v[14:15], v[206:207]
	v_mul_f64 v[14:15], v[6:7], s[18:19]
	v_add_f64 v[206:207], v[12:13], v[212:213]
	v_fma_f64 v[12:13], v[8:9], s[20:21], v[14:15]
	v_fma_f64 v[16:17], v[8:9], s[22:23], v[14:15]
	v_add_f64 v[208:209], v[12:13], v[208:209]
	v_mul_f64 v[12:13], v[10:11], s[8:9]
	v_add_f64 v[204:205], v[16:17], v[210:211]
	v_fma_f64 v[14:15], v[4:5], s[2:3], v[12:13]
	v_fma_f64 v[12:13], v[4:5], s[2:3], -v[12:13]
	v_add_f64 v[210:211], v[14:15], v[22:23]
	v_mul_f64 v[14:15], v[6:7], s[2:3]
	v_add_f64 v[214:215], v[12:13], v[20:21]
	v_fma_f64 v[12:13], v[8:9], s[8:9], v[14:15]
	v_fma_f64 v[16:17], v[8:9], s[0:1], v[14:15]
	v_add_f64 v[216:217], v[12:13], v[24:25]
	v_mul_f64 v[12:13], v[10:11], s[28:29]
	v_add_f64 v[212:213], v[16:17], v[26:27]
	;; [unrolled: 10-line block ×4, first 2 shown]
	v_fma_f64 v[14:15], v[4:5], s[52:53], v[12:13]
	v_fma_f64 v[12:13], v[4:5], s[52:53], -v[12:13]
	v_add_f64 v[234:235], v[14:15], v[46:47]
	v_mul_f64 v[14:15], v[6:7], s[52:53]
	v_add_f64 v[251:252], v[12:13], v[44:45]
	v_fma_f64 v[12:13], v[8:9], s[50:51], v[14:15]
	v_fma_f64 v[16:17], v[8:9], s[54:55], v[14:15]
	v_add_f64 v[249:250], v[12:13], v[48:49]
	v_mul_f64 v[12:13], v[10:11], s[34:35]
	v_mul_f64 v[10:11], v[10:11], s[10:11]
	v_add_f64 v[236:237], v[16:17], v[50:51]
	v_fma_f64 v[14:15], v[4:5], s[30:31], v[12:13]
	v_fma_f64 v[12:13], v[4:5], s[30:31], -v[12:13]
	v_add_f64 v[28:29], v[14:15], v[54:55]
	v_mul_f64 v[14:15], v[6:7], s[30:31]
	v_add_f64 v[24:25], v[12:13], v[52:53]
	v_mul_f64 v[6:7], v[6:7], s[14:15]
	v_fma_f64 v[12:13], v[8:9], s[34:35], v[14:15]
	v_fma_f64 v[16:17], v[8:9], s[36:37], v[14:15]
	v_add_f64 v[22:23], v[12:13], v[56:57]
	v_fma_f64 v[12:13], v[4:5], s[14:15], v[10:11]
	v_fma_f64 v[4:5], v[4:5], s[14:15], -v[10:11]
	v_add_f64 v[26:27], v[16:17], v[58:59]
	v_add_f64 v[20:21], v[12:13], v[60:61]
	;; [unrolled: 1-line block ×3, first 2 shown]
	v_fma_f64 v[0:1], v[8:9], s[10:11], v[6:7]
	v_mul_f64 v[4:5], v[240:241], s[50:51]
	v_fma_f64 v[12:13], v[8:9], s[16:17], v[6:7]
	v_add_f64 v[14:15], v[0:1], v[2:3]
	v_add_f64 v[2:3], v[188:189], v[192:193]
	v_add_f64 v[0:1], v[188:189], -v[192:193]
	v_add_f64 v[18:19], v[12:13], v[62:63]
	v_fma_f64 v[6:7], v[2:3], s[52:53], v[4:5]
	v_fma_f64 v[4:5], v[2:3], s[52:53], -v[4:5]
	v_add_f64 v[192:193], v[6:7], v[196:197]
	v_mul_f64 v[6:7], v[238:239], s[52:53]
	v_add_f64 v[188:189], v[4:5], v[200:201]
	v_fma_f64 v[4:5], v[0:1], s[50:51], v[6:7]
	v_fma_f64 v[8:9], v[0:1], s[54:55], v[6:7]
	v_add_f64 v[190:191], v[4:5], v[198:199]
	v_mul_f64 v[4:5], v[240:241], s[46:47]
	v_add_f64 v[194:195], v[8:9], v[253:254]
	v_fma_f64 v[6:7], v[2:3], s[44:45], v[4:5]
	v_fma_f64 v[4:5], v[2:3], s[44:45], -v[4:5]
	v_add_f64 v[200:201], v[6:7], v[202:203]
	v_mul_f64 v[6:7], v[238:239], s[44:45]
	v_add_f64 v[196:197], v[4:5], v[206:207]
	v_fma_f64 v[4:5], v[0:1], s[46:47], v[6:7]
	v_fma_f64 v[8:9], v[0:1], s[48:49], v[6:7]
	v_add_f64 v[198:199], v[4:5], v[208:209]
	v_mul_f64 v[4:5], v[240:241], s[38:39]
	;; [unrolled: 10-line block ×7, first 2 shown]
	v_add_f64 v[234:235], v[12:13], v[26:27]
	v_fma_f64 v[10:11], v[2:3], s[2:3], v[8:9]
	v_fma_f64 v[2:3], v[2:3], s[2:3], -v[8:9]
	v_add_f64 v[236:237], v[10:11], v[20:21]
	v_mul_f64 v[10:11], v[238:239], s[2:3]
	v_add_f64 v[248:249], v[2:3], v[16:17]
	v_fma_f64 v[12:13], v[0:1], s[8:9], v[10:11]
	v_fma_f64 v[0:1], v[0:1], s[0:1], v[10:11]
	v_add_f64 v[238:239], v[12:13], v[18:19]
	v_add_f64 v[250:251], v[0:1], v[14:15]
	ds_write_b128 v246, v[184:187]
	ds_write_b128 v246, v[192:195] offset:16
	ds_write_b128 v246, v[200:203] offset:32
	;; [unrolled: 1-line block ×16, first 2 shown]
	s_waitcnt lgkmcnt(0)
	s_barrier
	buffer_gl0_inv
	ds_read_b128 v[184:187], v255
	ds_read_b128 v[0:3], v255 offset:816
	ds_read_b128 v[4:7], v255 offset:1632
	;; [unrolled: 1-line block ×16, first 2 shown]
	s_waitcnt lgkmcnt(0)
	s_barrier
	buffer_gl0_inv
	v_mul_f64 v[12:13], v[94:95], v[2:3]
	v_fma_f64 v[12:13], v[92:93], v[0:1], v[12:13]
	v_mul_f64 v[0:1], v[94:95], v[0:1]
	v_fma_f64 v[14:15], v[92:93], v[2:3], -v[0:1]
	v_mul_f64 v[0:1], v[78:79], v[6:7]
	v_fma_f64 v[198:199], v[76:77], v[4:5], v[0:1]
	v_mul_f64 v[0:1], v[78:79], v[4:5]
	v_mul_f64 v[4:5], v[126:127], v[242:243]
	v_fma_f64 v[196:197], v[76:77], v[6:7], -v[0:1]
	v_mul_f64 v[0:1], v[74:75], v[190:191]
	v_mul_f64 v[6:7], v[118:119], v[8:9]
	v_fma_f64 v[194:195], v[72:73], v[188:189], v[0:1]
	v_mul_f64 v[0:1], v[74:75], v[188:189]
	v_fma_f64 v[6:7], v[116:117], v[10:11], -v[6:7]
	v_fma_f64 v[192:193], v[72:73], v[190:191], -v[0:1]
	v_mul_f64 v[0:1], v[70:71], v[202:203]
	v_fma_f64 v[2:3], v[68:69], v[200:201], v[0:1]
	v_mul_f64 v[0:1], v[70:71], v[200:201]
	v_fma_f64 v[190:191], v[68:69], v[202:203], -v[0:1]
	v_mul_f64 v[0:1], v[110:111], v[206:207]
	v_fma_f64 v[188:189], v[108:109], v[204:205], v[0:1]
	v_mul_f64 v[0:1], v[110:111], v[204:205]
	;; [unrolled: 4-line block ×8, first 2 shown]
	v_fma_f64 v[94:95], v[100:101], v[228:229], v[0:1]
	v_mul_f64 v[0:1], v[102:103], v[228:229]
	v_fma_f64 v[102:103], v[124:125], v[242:243], -v[4:5]
	v_mul_f64 v[4:5], v[122:123], v[250:251]
	v_fma_f64 v[86:87], v[100:101], v[230:231], -v[0:1]
	v_mul_f64 v[0:1], v[98:99], v[234:235]
	v_fma_f64 v[110:111], v[120:121], v[248:249], v[4:5]
	v_mul_f64 v[4:5], v[122:123], v[248:249]
	v_fma_f64 v[100:101], v[96:97], v[232:233], v[0:1]
	v_mul_f64 v[0:1], v[98:99], v[232:233]
	v_fma_f64 v[106:107], v[120:121], v[250:251], -v[4:5]
	v_mul_f64 v[4:5], v[118:119], v[10:11]
	v_add_f64 v[10:11], v[186:187], v[14:15]
	v_fma_f64 v[96:97], v[96:97], v[234:235], -v[0:1]
	v_mul_f64 v[0:1], v[130:131], v[238:239]
	v_fma_f64 v[4:5], v[116:117], v[8:9], v[4:5]
	v_add_f64 v[8:9], v[184:185], v[12:13]
	v_add_f64 v[10:11], v[10:11], v[196:197]
	v_fma_f64 v[98:99], v[128:129], v[236:237], v[0:1]
	v_mul_f64 v[0:1], v[130:131], v[236:237]
	v_add_f64 v[8:9], v[8:9], v[198:199]
	v_add_f64 v[10:11], v[10:11], v[192:193]
	v_fma_f64 v[0:1], v[128:129], v[238:239], -v[0:1]
	v_add_f64 v[8:9], v[8:9], v[194:195]
	v_add_f64 v[10:11], v[10:11], v[190:191]
	v_add_f64 v[8:9], v[8:9], v[2:3]
	v_add_f64 v[10:11], v[10:11], v[108:109]
	v_add_f64 v[8:9], v[8:9], v[188:189]
	v_add_f64 v[10:11], v[10:11], v[90:91]
	v_add_f64 v[8:9], v[8:9], v[92:93]
	v_add_f64 v[10:11], v[10:11], v[84:85]
	v_add_f64 v[8:9], v[8:9], v[88:89]
	v_add_f64 v[10:11], v[10:11], v[72:73]
	v_add_f64 v[8:9], v[8:9], v[76:77]
	v_add_f64 v[10:11], v[10:11], v[74:75]
	v_add_f64 v[8:9], v[8:9], v[78:79]
	v_add_f64 v[10:11], v[10:11], v[80:81]
	v_add_f64 v[8:9], v[8:9], v[82:83]
	v_add_f64 v[10:11], v[10:11], v[86:87]
	v_add_f64 v[8:9], v[8:9], v[94:95]
	v_add_f64 v[10:11], v[10:11], v[96:97]
	v_add_f64 v[8:9], v[8:9], v[100:101]
	v_add_f64 v[10:11], v[10:11], v[0:1]
	v_add_f64 v[8:9], v[8:9], v[98:99]
	v_add_f64 v[10:11], v[10:11], v[102:103]
	v_add_f64 v[8:9], v[8:9], v[104:105]
	v_add_f64 v[10:11], v[10:11], v[106:107]
	v_add_f64 v[8:9], v[8:9], v[110:111]
	v_add_f64 v[70:71], v[10:11], v[6:7]
	v_add_f64 v[10:11], v[14:15], v[6:7]
	v_add_f64 v[6:7], v[14:15], -v[6:7]
	v_add_f64 v[68:69], v[8:9], v[4:5]
	v_add_f64 v[8:9], v[12:13], v[4:5]
	v_add_f64 v[4:5], v[12:13], -v[4:5]
	v_mul_f64 v[16:17], v[10:11], s[44:45]
	v_mul_f64 v[24:25], v[10:11], s[30:31]
	;; [unrolled: 1-line block ×16, first 2 shown]
	v_fma_f64 v[18:19], v[4:5], s[46:47], v[16:17]
	v_fma_f64 v[16:17], v[4:5], s[48:49], v[16:17]
	;; [unrolled: 1-line block ×16, first 2 shown]
	v_add_f64 v[10:11], v[196:197], v[106:107]
	v_add_f64 v[106:107], v[196:197], -v[106:107]
	v_fma_f64 v[14:15], v[8:9], s[44:45], v[12:13]
	v_fma_f64 v[12:13], v[8:9], s[44:45], -v[12:13]
	v_fma_f64 v[22:23], v[8:9], s[30:31], v[20:21]
	v_fma_f64 v[20:21], v[8:9], s[30:31], -v[20:21]
	;; [unrolled: 2-line block ×8, first 2 shown]
	v_add_f64 v[8:9], v[198:199], v[110:111]
	v_add_f64 v[110:111], v[198:199], -v[110:111]
	v_add_f64 v[16:17], v[186:187], v[16:17]
	v_add_f64 v[24:25], v[186:187], v[24:25]
	;; [unrolled: 1-line block ×3, first 2 shown]
	v_mul_f64 v[120:121], v[106:107], s[36:37]
	v_add_f64 v[14:15], v[184:185], v[14:15]
	v_add_f64 v[12:13], v[184:185], v[12:13]
	;; [unrolled: 1-line block ×21, first 2 shown]
	v_fma_f64 v[122:123], v[8:9], s[30:31], v[120:121]
	v_fma_f64 v[120:121], v[8:9], s[30:31], -v[120:121]
	v_add_f64 v[60:61], v[184:185], v[60:61]
	v_add_f64 v[112:113], v[186:187], v[112:113]
	;; [unrolled: 1-line block ×9, first 2 shown]
	v_mul_f64 v[122:123], v[10:11], s[30:31]
	v_add_f64 v[12:13], v[120:121], v[12:13]
	v_fma_f64 v[120:121], v[110:111], s[36:37], v[122:123]
	v_fma_f64 v[124:125], v[110:111], s[34:35], v[122:123]
	v_add_f64 v[16:17], v[120:121], v[16:17]
	v_mul_f64 v[120:121], v[106:107], s[8:9]
	v_add_f64 v[18:19], v[124:125], v[18:19]
	v_fma_f64 v[122:123], v[8:9], s[2:3], v[120:121]
	v_fma_f64 v[120:121], v[8:9], s[2:3], -v[120:121]
	v_add_f64 v[22:23], v[122:123], v[22:23]
	v_mul_f64 v[122:123], v[10:11], s[2:3]
	v_add_f64 v[20:21], v[120:121], v[20:21]
	v_fma_f64 v[120:121], v[110:111], s[8:9], v[122:123]
	v_fma_f64 v[124:125], v[110:111], s[0:1], v[122:123]
	v_add_f64 v[24:25], v[120:121], v[24:25]
	v_mul_f64 v[120:121], v[106:107], s[24:25]
	v_add_f64 v[26:27], v[124:125], v[26:27]
	v_fma_f64 v[122:123], v[8:9], s[26:27], v[120:121]
	v_fma_f64 v[120:121], v[8:9], s[26:27], -v[120:121]
	v_add_f64 v[30:31], v[122:123], v[30:31]
	;; [unrolled: 10-line block ×5, first 2 shown]
	v_mul_f64 v[122:123], v[10:11], s[14:15]
	v_add_f64 v[52:53], v[120:121], v[52:53]
	v_fma_f64 v[120:121], v[110:111], s[16:17], v[122:123]
	v_fma_f64 v[124:125], v[110:111], s[10:11], v[122:123]
	v_add_f64 v[56:57], v[120:121], v[56:57]
	v_mul_f64 v[120:121], v[106:107], s[20:21]
	v_mul_f64 v[106:107], v[106:107], s[46:47]
	v_add_f64 v[58:59], v[124:125], v[58:59]
	v_fma_f64 v[122:123], v[8:9], s[18:19], v[120:121]
	v_fma_f64 v[120:121], v[8:9], s[18:19], -v[120:121]
	v_add_f64 v[62:63], v[122:123], v[62:63]
	v_mul_f64 v[122:123], v[10:11], s[18:19]
	v_add_f64 v[60:61], v[120:121], v[60:61]
	v_mul_f64 v[10:11], v[10:11], s[44:45]
	v_fma_f64 v[120:121], v[110:111], s[20:21], v[122:123]
	v_fma_f64 v[124:125], v[110:111], s[22:23], v[122:123]
	v_add_f64 v[112:113], v[120:121], v[112:113]
	v_fma_f64 v[120:121], v[8:9], s[44:45], v[106:107]
	v_fma_f64 v[8:9], v[8:9], s[44:45], -v[106:107]
	v_add_f64 v[114:115], v[124:125], v[114:115]
	v_add_f64 v[124:125], v[72:73], v[74:75]
	;; [unrolled: 1-line block ×3, first 2 shown]
	v_fma_f64 v[120:121], v[110:111], s[48:49], v[10:11]
	v_add_f64 v[6:7], v[8:9], v[6:7]
	v_fma_f64 v[8:9], v[110:111], s[46:47], v[10:11]
	v_add_f64 v[10:11], v[192:193], v[102:103]
	v_add_f64 v[102:103], v[192:193], -v[102:103]
	v_add_f64 v[118:119], v[120:121], v[118:119]
	v_add_f64 v[4:5], v[8:9], v[4:5]
	;; [unrolled: 1-line block ×3, first 2 shown]
	v_mul_f64 v[106:107], v[102:103], s[22:23]
	v_add_f64 v[104:105], v[194:195], -v[104:105]
	v_fma_f64 v[110:111], v[8:9], s[18:19], v[106:107]
	v_fma_f64 v[106:107], v[8:9], s[18:19], -v[106:107]
	v_add_f64 v[14:15], v[110:111], v[14:15]
	v_mul_f64 v[110:111], v[10:11], s[18:19]
	v_add_f64 v[12:13], v[106:107], v[12:13]
	v_fma_f64 v[106:107], v[104:105], s[22:23], v[110:111]
	v_fma_f64 v[120:121], v[104:105], s[20:21], v[110:111]
	v_add_f64 v[16:17], v[106:107], v[16:17]
	v_mul_f64 v[106:107], v[102:103], s[24:25]
	v_add_f64 v[18:19], v[120:121], v[18:19]
	v_fma_f64 v[110:111], v[8:9], s[26:27], v[106:107]
	v_fma_f64 v[106:107], v[8:9], s[26:27], -v[106:107]
	v_add_f64 v[22:23], v[110:111], v[22:23]
	v_mul_f64 v[110:111], v[10:11], s[26:27]
	v_add_f64 v[20:21], v[106:107], v[20:21]
	v_fma_f64 v[106:107], v[104:105], s[24:25], v[110:111]
	v_fma_f64 v[120:121], v[104:105], s[28:29], v[110:111]
	v_add_f64 v[24:25], v[106:107], v[24:25]
	v_mul_f64 v[106:107], v[102:103], s[54:55]
	v_add_f64 v[26:27], v[120:121], v[26:27]
	;; [unrolled: 10-line block ×5, first 2 shown]
	v_fma_f64 v[110:111], v[8:9], s[44:45], v[106:107]
	v_fma_f64 v[106:107], v[8:9], s[44:45], -v[106:107]
	v_add_f64 v[54:55], v[110:111], v[54:55]
	v_mul_f64 v[110:111], v[10:11], s[44:45]
	v_add_f64 v[52:53], v[106:107], v[52:53]
	v_fma_f64 v[106:107], v[104:105], s[48:49], v[110:111]
	v_fma_f64 v[120:121], v[104:105], s[46:47], v[110:111]
	v_add_f64 v[56:57], v[106:107], v[56:57]
	v_mul_f64 v[106:107], v[102:103], s[8:9]
	v_mul_f64 v[102:103], v[102:103], s[38:39]
	v_add_f64 v[58:59], v[120:121], v[58:59]
	v_fma_f64 v[110:111], v[8:9], s[2:3], v[106:107]
	v_fma_f64 v[106:107], v[8:9], s[2:3], -v[106:107]
	v_add_f64 v[62:63], v[110:111], v[62:63]
	v_mul_f64 v[110:111], v[10:11], s[2:3]
	v_add_f64 v[60:61], v[106:107], v[60:61]
	v_mul_f64 v[10:11], v[10:11], s[40:41]
	v_fma_f64 v[120:121], v[104:105], s[0:1], v[110:111]
	v_fma_f64 v[106:107], v[104:105], s[8:9], v[110:111]
	;; [unrolled: 1-line block ×3, first 2 shown]
	v_fma_f64 v[8:9], v[8:9], s[40:41], -v[102:103]
	v_add_f64 v[114:115], v[120:121], v[114:115]
	v_add_f64 v[106:107], v[106:107], v[112:113]
	v_fma_f64 v[112:113], v[104:105], s[42:43], v[10:11]
	v_add_f64 v[6:7], v[8:9], v[6:7]
	v_fma_f64 v[8:9], v[104:105], s[38:39], v[10:11]
	v_add_f64 v[10:11], v[190:191], v[0:1]
	v_add_f64 v[0:1], v[190:191], -v[0:1]
	v_add_f64 v[110:111], v[110:111], v[116:117]
	v_add_f64 v[190:191], v[72:73], -v[74:75]
	v_add_f64 v[112:113], v[112:113], v[118:119]
	v_add_f64 v[4:5], v[8:9], v[4:5]
	;; [unrolled: 1-line block ×3, first 2 shown]
	v_add_f64 v[2:3], v[2:3], -v[98:99]
	v_mul_f64 v[98:99], v[0:1], s[8:9]
	v_fma_f64 v[102:103], v[8:9], s[2:3], v[98:99]
	v_fma_f64 v[98:99], v[8:9], s[2:3], -v[98:99]
	v_add_f64 v[14:15], v[102:103], v[14:15]
	v_mul_f64 v[102:103], v[10:11], s[2:3]
	v_add_f64 v[12:13], v[98:99], v[12:13]
	v_fma_f64 v[98:99], v[2:3], s[8:9], v[102:103]
	v_fma_f64 v[104:105], v[2:3], s[0:1], v[102:103]
	v_add_f64 v[16:17], v[98:99], v[16:17]
	v_mul_f64 v[98:99], v[0:1], s[50:51]
	v_add_f64 v[18:19], v[104:105], v[18:19]
	v_fma_f64 v[102:103], v[8:9], s[52:53], v[98:99]
	v_fma_f64 v[98:99], v[8:9], s[52:53], -v[98:99]
	v_add_f64 v[22:23], v[102:103], v[22:23]
	v_mul_f64 v[102:103], v[10:11], s[52:53]
	v_add_f64 v[20:21], v[98:99], v[20:21]
	v_fma_f64 v[98:99], v[2:3], s[50:51], v[102:103]
	v_fma_f64 v[104:105], v[2:3], s[54:55], v[102:103]
	v_add_f64 v[24:25], v[98:99], v[24:25]
	v_mul_f64 v[98:99], v[0:1], s[16:17]
	v_add_f64 v[26:27], v[104:105], v[26:27]
	;; [unrolled: 10-line block ×5, first 2 shown]
	v_fma_f64 v[102:103], v[8:9], s[40:41], v[98:99]
	v_fma_f64 v[98:99], v[8:9], s[40:41], -v[98:99]
	v_add_f64 v[54:55], v[102:103], v[54:55]
	v_mul_f64 v[102:103], v[10:11], s[40:41]
	v_add_f64 v[52:53], v[98:99], v[52:53]
	v_fma_f64 v[98:99], v[2:3], s[38:39], v[102:103]
	v_fma_f64 v[104:105], v[2:3], s[42:43], v[102:103]
	v_add_f64 v[56:57], v[98:99], v[56:57]
	v_mul_f64 v[98:99], v[0:1], s[28:29]
	v_mul_f64 v[0:1], v[0:1], s[34:35]
	v_add_f64 v[58:59], v[104:105], v[58:59]
	v_fma_f64 v[102:103], v[8:9], s[26:27], v[98:99]
	v_fma_f64 v[98:99], v[8:9], s[26:27], -v[98:99]
	v_add_f64 v[62:63], v[102:103], v[62:63]
	v_mul_f64 v[102:103], v[10:11], s[26:27]
	v_add_f64 v[60:61], v[98:99], v[60:61]
	v_mul_f64 v[10:11], v[10:11], s[30:31]
	v_fma_f64 v[98:99], v[2:3], s[28:29], v[102:103]
	v_fma_f64 v[104:105], v[2:3], s[24:25], v[102:103]
	;; [unrolled: 1-line block ×3, first 2 shown]
	v_fma_f64 v[0:1], v[8:9], s[30:31], -v[0:1]
	v_add_f64 v[8:9], v[188:189], -v[100:101]
	v_add_f64 v[98:99], v[98:99], v[106:107]
	v_fma_f64 v[106:107], v[2:3], s[36:37], v[10:11]
	v_fma_f64 v[2:3], v[2:3], s[34:35], v[10:11]
	v_add_f64 v[10:11], v[108:109], -v[96:97]
	v_add_f64 v[0:1], v[0:1], v[6:7]
	v_add_f64 v[6:7], v[108:109], v[96:97]
	;; [unrolled: 1-line block ×7, first 2 shown]
	v_mul_f64 v[96:97], v[10:11], s[10:11]
	v_fma_f64 v[100:101], v[4:5], s[14:15], v[96:97]
	v_fma_f64 v[96:97], v[4:5], s[14:15], -v[96:97]
	v_add_f64 v[14:15], v[100:101], v[14:15]
	v_mul_f64 v[100:101], v[6:7], s[14:15]
	v_add_f64 v[12:13], v[96:97], v[12:13]
	v_fma_f64 v[96:97], v[8:9], s[10:11], v[100:101]
	v_fma_f64 v[108:109], v[8:9], s[16:17], v[100:101]
	v_add_f64 v[16:17], v[96:97], v[16:17]
	v_mul_f64 v[96:97], v[10:11], s[42:43]
	v_add_f64 v[18:19], v[108:109], v[18:19]
	v_fma_f64 v[100:101], v[4:5], s[40:41], v[96:97]
	v_fma_f64 v[96:97], v[4:5], s[40:41], -v[96:97]
	v_add_f64 v[22:23], v[100:101], v[22:23]
	v_mul_f64 v[100:101], v[6:7], s[40:41]
	v_add_f64 v[20:21], v[96:97], v[20:21]
	v_fma_f64 v[96:97], v[8:9], s[42:43], v[100:101]
	v_fma_f64 v[108:109], v[8:9], s[38:39], v[100:101]
	v_add_f64 v[24:25], v[96:97], v[24:25]
	v_mul_f64 v[96:97], v[10:11], s[34:35]
	v_add_f64 v[26:27], v[108:109], v[26:27]
	;; [unrolled: 10-line block ×5, first 2 shown]
	v_fma_f64 v[100:101], v[4:5], s[2:3], v[96:97]
	v_fma_f64 v[96:97], v[4:5], s[2:3], -v[96:97]
	v_add_f64 v[54:55], v[100:101], v[54:55]
	v_mul_f64 v[100:101], v[6:7], s[2:3]
	v_add_f64 v[52:53], v[96:97], v[52:53]
	v_fma_f64 v[96:97], v[8:9], s[0:1], v[100:101]
	v_fma_f64 v[108:109], v[8:9], s[8:9], v[100:101]
	v_add_f64 v[56:57], v[96:97], v[56:57]
	v_mul_f64 v[96:97], v[10:11], s[48:49]
	v_mul_f64 v[10:11], v[10:11], s[24:25]
	v_add_f64 v[58:59], v[108:109], v[58:59]
	v_fma_f64 v[100:101], v[4:5], s[44:45], v[96:97]
	v_fma_f64 v[96:97], v[4:5], s[44:45], -v[96:97]
	v_add_f64 v[62:63], v[100:101], v[62:63]
	v_mul_f64 v[100:101], v[6:7], s[44:45]
	v_add_f64 v[60:61], v[96:97], v[60:61]
	v_mul_f64 v[6:7], v[6:7], s[26:27]
	v_fma_f64 v[96:97], v[8:9], s[48:49], v[100:101]
	v_fma_f64 v[108:109], v[8:9], s[46:47], v[100:101]
	;; [unrolled: 1-line block ×3, first 2 shown]
	v_add_f64 v[96:97], v[96:97], v[98:99]
	v_fma_f64 v[98:99], v[4:5], s[26:27], v[10:11]
	v_fma_f64 v[4:5], v[4:5], s[26:27], -v[10:11]
	v_add_f64 v[10:11], v[90:91], -v[86:87]
	v_add_f64 v[104:105], v[108:109], v[104:105]
	v_add_f64 v[100:101], v[100:101], v[106:107]
	;; [unrolled: 1-line block ×4, first 2 shown]
	v_fma_f64 v[4:5], v[8:9], s[24:25], v[6:7]
	v_add_f64 v[6:7], v[90:91], v[86:87]
	v_mul_f64 v[86:87], v[10:11], s[24:25]
	v_add_f64 v[8:9], v[92:93], -v[94:95]
	v_add_f64 v[2:3], v[4:5], v[2:3]
	v_add_f64 v[4:5], v[92:93], v[94:95]
	v_fma_f64 v[90:91], v[4:5], s[26:27], v[86:87]
	v_fma_f64 v[86:87], v[4:5], s[26:27], -v[86:87]
	v_add_f64 v[14:15], v[90:91], v[14:15]
	v_mul_f64 v[90:91], v[6:7], s[26:27]
	v_add_f64 v[12:13], v[86:87], v[12:13]
	v_fma_f64 v[86:87], v[8:9], s[24:25], v[90:91]
	v_fma_f64 v[92:93], v[8:9], s[28:29], v[90:91]
	v_add_f64 v[16:17], v[86:87], v[16:17]
	v_mul_f64 v[86:87], v[10:11], s[16:17]
	v_add_f64 v[18:19], v[92:93], v[18:19]
	v_fma_f64 v[90:91], v[4:5], s[14:15], v[86:87]
	v_fma_f64 v[86:87], v[4:5], s[14:15], -v[86:87]
	v_add_f64 v[22:23], v[90:91], v[22:23]
	v_mul_f64 v[90:91], v[6:7], s[14:15]
	v_add_f64 v[20:21], v[86:87], v[20:21]
	v_fma_f64 v[86:87], v[8:9], s[16:17], v[90:91]
	v_fma_f64 v[92:93], v[8:9], s[10:11], v[90:91]
	v_add_f64 v[24:25], v[86:87], v[24:25]
	v_mul_f64 v[86:87], v[10:11], s[48:49]
	;; [unrolled: 10-line block ×6, first 2 shown]
	v_mul_f64 v[10:11], v[10:11], s[20:21]
	v_add_f64 v[58:59], v[92:93], v[58:59]
	v_fma_f64 v[90:91], v[4:5], s[52:53], v[86:87]
	v_fma_f64 v[86:87], v[4:5], s[52:53], -v[86:87]
	v_add_f64 v[62:63], v[90:91], v[62:63]
	v_mul_f64 v[90:91], v[6:7], s[52:53]
	v_add_f64 v[60:61], v[86:87], v[60:61]
	v_mul_f64 v[6:7], v[6:7], s[18:19]
	v_fma_f64 v[92:93], v[8:9], s[54:55], v[90:91]
	v_fma_f64 v[86:87], v[8:9], s[50:51], v[90:91]
	;; [unrolled: 1-line block ×3, first 2 shown]
	v_fma_f64 v[4:5], v[4:5], s[18:19], -v[10:11]
	v_add_f64 v[10:11], v[84:85], -v[80:81]
	v_add_f64 v[116:117], v[92:93], v[104:105]
	v_add_f64 v[86:87], v[86:87], v[96:97]
	;; [unrolled: 1-line block ×4, first 2 shown]
	v_fma_f64 v[4:5], v[8:9], s[20:21], v[6:7]
	v_fma_f64 v[90:91], v[8:9], s[22:23], v[6:7]
	v_add_f64 v[6:7], v[84:85], v[80:81]
	v_mul_f64 v[80:81], v[10:11], s[38:39]
	v_add_f64 v[8:9], v[88:89], -v[82:83]
	v_add_f64 v[2:3], v[4:5], v[2:3]
	v_add_f64 v[4:5], v[88:89], v[82:83]
	;; [unrolled: 1-line block ×3, first 2 shown]
	v_fma_f64 v[82:83], v[4:5], s[40:41], v[80:81]
	v_fma_f64 v[80:81], v[4:5], s[40:41], -v[80:81]
	v_add_f64 v[14:15], v[82:83], v[14:15]
	v_mul_f64 v[82:83], v[6:7], s[40:41]
	v_add_f64 v[12:13], v[80:81], v[12:13]
	v_fma_f64 v[80:81], v[8:9], s[38:39], v[82:83]
	v_fma_f64 v[84:85], v[8:9], s[42:43], v[82:83]
	v_add_f64 v[16:17], v[80:81], v[16:17]
	v_mul_f64 v[80:81], v[10:11], s[20:21]
	v_add_f64 v[18:19], v[84:85], v[18:19]
	v_fma_f64 v[82:83], v[4:5], s[18:19], v[80:81]
	v_fma_f64 v[80:81], v[4:5], s[18:19], -v[80:81]
	v_add_f64 v[22:23], v[82:83], v[22:23]
	v_mul_f64 v[82:83], v[6:7], s[18:19]
	v_add_f64 v[194:195], v[80:81], v[20:21]
	v_fma_f64 v[20:21], v[8:9], s[20:21], v[82:83]
	v_fma_f64 v[84:85], v[8:9], s[22:23], v[82:83]
	v_add_f64 v[192:193], v[20:21], v[24:25]
	v_mul_f64 v[20:21], v[10:11], s[8:9]
	v_add_f64 v[26:27], v[84:85], v[26:27]
	;; [unrolled: 10-line block ×5, first 2 shown]
	v_fma_f64 v[24:25], v[4:5], s[52:53], v[20:21]
	v_fma_f64 v[20:21], v[4:5], s[52:53], -v[20:21]
	v_add_f64 v[112:113], v[24:25], v[54:55]
	v_mul_f64 v[24:25], v[6:7], s[52:53]
	v_add_f64 v[188:189], v[20:21], v[52:53]
	v_fma_f64 v[20:21], v[8:9], s[50:51], v[24:25]
	v_fma_f64 v[28:29], v[8:9], s[54:55], v[24:25]
	v_add_f64 v[186:187], v[20:21], v[56:57]
	v_mul_f64 v[20:21], v[10:11], s[34:35]
	v_mul_f64 v[10:11], v[10:11], s[10:11]
	v_add_f64 v[114:115], v[28:29], v[58:59]
	v_fma_f64 v[24:25], v[4:5], s[30:31], v[20:21]
	v_fma_f64 v[20:21], v[4:5], s[30:31], -v[20:21]
	v_add_f64 v[184:185], v[24:25], v[62:63]
	v_mul_f64 v[24:25], v[6:7], s[30:31]
	v_add_f64 v[128:129], v[20:21], v[60:61]
	v_mul_f64 v[6:7], v[6:7], s[14:15]
	v_fma_f64 v[20:21], v[8:9], s[34:35], v[24:25]
	v_fma_f64 v[28:29], v[8:9], s[36:37], v[24:25]
	v_add_f64 v[126:127], v[20:21], v[86:87]
	v_fma_f64 v[20:21], v[4:5], s[14:15], v[10:11]
	v_fma_f64 v[4:5], v[4:5], s[14:15], -v[10:11]
	v_add_f64 v[130:131], v[28:29], v[116:117]
	v_add_f64 v[122:123], v[20:21], v[118:119]
	;; [unrolled: 1-line block ×4, first 2 shown]
	v_mul_f64 v[4:5], v[190:191], s[50:51]
	v_fma_f64 v[20:21], v[8:9], s[16:17], v[6:7]
	v_fma_f64 v[0:1], v[8:9], s[10:11], v[6:7]
	;; [unrolled: 1-line block ×3, first 2 shown]
	v_fma_f64 v[4:5], v[118:119], s[52:53], -v[4:5]
	v_add_f64 v[0:1], v[0:1], v[2:3]
	v_add_f64 v[2:3], v[76:77], -v[78:79]
	v_add_f64 v[120:121], v[20:21], v[120:121]
	v_add_f64 v[80:81], v[6:7], v[14:15]
	v_mul_f64 v[6:7], v[124:125], s[52:53]
	v_add_f64 v[72:73], v[4:5], v[12:13]
	v_mul_f64 v[12:13], v[190:191], s[10:11]
	v_mul_f64 v[14:15], v[124:125], s[14:15]
	v_fma_f64 v[4:5], v[2:3], s[50:51], v[6:7]
	v_fma_f64 v[8:9], v[2:3], s[54:55], v[6:7]
	;; [unrolled: 1-line block ×3, first 2 shown]
	v_add_f64 v[74:75], v[4:5], v[16:17]
	v_mul_f64 v[4:5], v[190:191], s[46:47]
	v_add_f64 v[82:83], v[8:9], v[18:19]
	v_add_f64 v[10:11], v[10:11], v[130:131]
	v_fma_f64 v[6:7], v[118:119], s[44:45], v[4:5]
	v_fma_f64 v[4:5], v[118:119], s[44:45], -v[4:5]
	v_add_f64 v[84:85], v[6:7], v[22:23]
	v_mul_f64 v[6:7], v[124:125], s[44:45]
	v_add_f64 v[76:77], v[4:5], v[194:195]
	v_fma_f64 v[4:5], v[2:3], s[46:47], v[6:7]
	v_fma_f64 v[8:9], v[2:3], s[48:49], v[6:7]
	v_add_f64 v[78:79], v[4:5], v[192:193]
	v_mul_f64 v[4:5], v[190:191], s[38:39]
	v_add_f64 v[86:87], v[8:9], v[26:27]
	v_fma_f64 v[6:7], v[118:119], s[40:41], v[4:5]
	v_fma_f64 v[4:5], v[118:119], s[40:41], -v[4:5]
	v_add_f64 v[88:89], v[6:7], v[88:89]
	v_mul_f64 v[6:7], v[124:125], s[40:41]
	v_add_f64 v[92:93], v[4:5], v[92:93]
	v_fma_f64 v[4:5], v[2:3], s[38:39], v[6:7]
	v_fma_f64 v[8:9], v[2:3], s[42:43], v[6:7]
	v_add_f64 v[94:95], v[4:5], v[94:95]
	v_mul_f64 v[4:5], v[190:191], s[34:35]
	v_add_f64 v[90:91], v[8:9], v[90:91]
	v_fma_f64 v[6:7], v[118:119], s[30:31], v[4:5]
	v_fma_f64 v[4:5], v[118:119], s[30:31], -v[4:5]
	v_add_f64 v[96:97], v[6:7], v[96:97]
	v_mul_f64 v[6:7], v[124:125], s[30:31]
	v_add_f64 v[100:101], v[4:5], v[100:101]
	v_fma_f64 v[4:5], v[2:3], s[34:35], v[6:7]
	v_fma_f64 v[8:9], v[2:3], s[36:37], v[6:7]
	v_add_f64 v[102:103], v[4:5], v[102:103]
	v_mul_f64 v[4:5], v[190:191], s[24:25]
	v_add_f64 v[98:99], v[8:9], v[98:99]
	v_fma_f64 v[6:7], v[118:119], s[26:27], v[4:5]
	v_fma_f64 v[4:5], v[118:119], s[26:27], -v[4:5]
	v_add_f64 v[104:105], v[6:7], v[104:105]
	v_mul_f64 v[6:7], v[124:125], s[26:27]
	v_add_f64 v[108:109], v[4:5], v[108:109]
	v_fma_f64 v[4:5], v[2:3], s[24:25], v[6:7]
	v_fma_f64 v[8:9], v[2:3], s[28:29], v[6:7]
	v_add_f64 v[110:111], v[4:5], v[110:111]
	v_mul_f64 v[4:5], v[190:191], s[20:21]
	v_add_f64 v[106:107], v[8:9], v[106:107]
	v_fma_f64 v[6:7], v[118:119], s[18:19], v[4:5]
	v_fma_f64 v[4:5], v[118:119], s[18:19], -v[4:5]
	v_add_f64 v[112:113], v[6:7], v[112:113]
	v_mul_f64 v[6:7], v[124:125], s[18:19]
	v_add_f64 v[4:5], v[4:5], v[188:189]
	v_fma_f64 v[8:9], v[2:3], s[22:23], v[6:7]
	v_fma_f64 v[6:7], v[2:3], s[20:21], v[6:7]
	v_add_f64 v[114:115], v[8:9], v[114:115]
	v_fma_f64 v[8:9], v[118:119], s[14:15], v[12:13]
	v_fma_f64 v[12:13], v[118:119], s[14:15], -v[12:13]
	v_add_f64 v[6:7], v[6:7], v[186:187]
	v_add_f64 v[8:9], v[8:9], v[184:185]
	;; [unrolled: 1-line block ×3, first 2 shown]
	v_fma_f64 v[12:13], v[2:3], s[10:11], v[14:15]
	v_add_f64 v[130:131], v[12:13], v[126:127]
	v_mul_f64 v[12:13], v[190:191], s[0:1]
	v_fma_f64 v[14:15], v[118:119], s[2:3], v[12:13]
	v_fma_f64 v[12:13], v[118:119], s[2:3], -v[12:13]
	v_add_f64 v[122:123], v[14:15], v[122:123]
	v_mul_f64 v[14:15], v[124:125], s[2:3]
	v_add_f64 v[116:117], v[12:13], v[116:117]
	v_fma_f64 v[16:17], v[2:3], s[8:9], v[14:15]
	v_fma_f64 v[2:3], v[2:3], s[0:1], v[14:15]
	v_add_f64 v[124:125], v[16:17], v[120:121]
	v_add_f64 v[118:119], v[2:3], v[0:1]
	ds_write_b128 v247, v[68:71]
	ds_write_b128 v247, v[80:83] offset:272
	ds_write_b128 v247, v[84:87] offset:544
	;; [unrolled: 1-line block ×16, first 2 shown]
	s_waitcnt lgkmcnt(0)
	s_barrier
	buffer_gl0_inv
	ds_read_b128 v[92:95], v255
	ds_read_b128 v[120:123], v255 offset:4624
	ds_read_b128 v[124:127], v255 offset:9248
	;; [unrolled: 1-line block ×14, first 2 shown]
	s_and_saveexec_b32 s0, vcc_lo
	s_cbranch_execz .LBB0_7
; %bb.6:
	ds_read_b128 v[76:79], v255 offset:4080
	ds_read_b128 v[72:75], v255 offset:8704
	;; [unrolled: 1-line block ×3, first 2 shown]
.LBB0_7:
	s_or_b32 exec_lo, exec_lo, s0
	s_waitcnt lgkmcnt(13)
	v_mul_f64 v[0:1], v[134:135], v[122:123]
	s_waitcnt lgkmcnt(12)
	v_mul_f64 v[2:3], v[138:139], v[126:127]
	v_mul_f64 v[4:5], v[134:135], v[120:121]
	v_mul_f64 v[6:7], v[138:139], v[124:125]
	s_waitcnt lgkmcnt(10)
	v_mul_f64 v[8:9], v[142:143], v[130:131]
	s_waitcnt lgkmcnt(9)
	v_mul_f64 v[10:11], v[146:147], v[186:187]
	v_mul_f64 v[12:13], v[142:143], v[128:129]
	v_mul_f64 v[14:15], v[146:147], v[184:185]
	;; [unrolled: 6-line block ×3, first 2 shown]
	s_waitcnt lgkmcnt(4)
	v_mul_f64 v[24:25], v[170:171], v[114:115]
	v_mul_f64 v[26:27], v[170:171], v[112:113]
	s_waitcnt lgkmcnt(3)
	v_mul_f64 v[28:29], v[166:167], v[118:119]
	v_mul_f64 v[30:31], v[166:167], v[116:117]
	s_waitcnt lgkmcnt(1)
	v_mul_f64 v[32:33], v[174:175], v[98:99]
	s_waitcnt lgkmcnt(0)
	v_mul_f64 v[34:35], v[178:179], v[102:103]
	v_mul_f64 v[36:37], v[174:175], v[96:97]
	;; [unrolled: 1-line block ×3, first 2 shown]
	s_mov_b32 s0, 0xe8584caa
	s_mov_b32 s1, 0xbfebb67a
	v_fma_f64 v[0:1], v[132:133], v[120:121], v[0:1]
	v_fma_f64 v[2:3], v[136:137], v[124:125], v[2:3]
	v_fma_f64 v[4:5], v[132:133], v[122:123], -v[4:5]
	v_fma_f64 v[6:7], v[136:137], v[126:127], -v[6:7]
	v_fma_f64 v[8:9], v[140:141], v[128:129], v[8:9]
	v_fma_f64 v[10:11], v[144:145], v[184:185], v[10:11]
	v_fma_f64 v[12:13], v[140:141], v[130:131], -v[12:13]
	v_fma_f64 v[14:15], v[144:145], v[186:187], -v[14:15]
	;; [unrolled: 4-line block ×3, first 2 shown]
	v_fma_f64 v[24:25], v[168:169], v[112:113], v[24:25]
	v_fma_f64 v[26:27], v[168:169], v[114:115], -v[26:27]
	v_fma_f64 v[28:29], v[164:165], v[116:117], v[28:29]
	v_fma_f64 v[30:31], v[164:165], v[118:119], -v[30:31]
	v_fma_f64 v[32:33], v[172:173], v[96:97], v[32:33]
	v_fma_f64 v[34:35], v[176:177], v[100:101], v[34:35]
	v_fma_f64 v[36:37], v[172:173], v[98:99], -v[36:37]
	v_fma_f64 v[38:39], v[176:177], v[102:103], -v[38:39]
	s_mov_b32 s3, 0x3febb67a
	s_mov_b32 s2, s0
	v_add_f64 v[44:45], v[92:93], v[0:1]
	v_add_f64 v[40:41], v[0:1], v[2:3]
	v_add_f64 v[52:53], v[0:1], -v[2:3]
	v_add_f64 v[42:43], v[4:5], v[6:7]
	v_add_f64 v[48:49], v[4:5], -v[6:7]
	v_add_f64 v[46:47], v[8:9], v[10:11]
	v_add_f64 v[4:5], v[94:95], v[4:5]
	;; [unrolled: 1-line block ×5, first 2 shown]
	v_add_f64 v[60:61], v[8:9], -v[10:11]
	v_add_f64 v[58:59], v[20:21], v[22:23]
	v_add_f64 v[56:57], v[12:13], -v[14:15]
	v_add_f64 v[12:13], v[70:71], v[12:13]
	v_add_f64 v[8:9], v[24:25], v[28:29]
	;; [unrolled: 1-line block ×5, first 2 shown]
	v_add_f64 v[96:97], v[20:21], -v[22:23]
	v_add_f64 v[20:21], v[82:83], v[20:21]
	v_add_f64 v[16:17], v[16:17], -v[18:19]
	v_add_f64 v[102:103], v[84:85], v[24:25]
	v_add_f64 v[106:107], v[26:27], -v[30:31]
	v_fma_f64 v[40:41], v[40:41], -0.5, v[92:93]
	v_add_f64 v[92:93], v[36:37], v[38:39]
	v_fma_f64 v[42:43], v[42:43], -0.5, v[94:95]
	v_add_f64 v[26:27], v[86:87], v[26:27]
	v_fma_f64 v[46:47], v[46:47], -0.5, v[68:69]
	v_add_f64 v[24:25], v[24:25], -v[28:29]
	v_fma_f64 v[50:51], v[50:51], -0.5, v[70:71]
	v_add_f64 v[112:113], v[88:89], v[32:33]
	v_fma_f64 v[94:95], v[0:1], -0.5, v[80:81]
	v_add_f64 v[0:1], v[44:45], v[2:3]
	;; [unrolled: 2-line block ×3, first 2 shown]
	v_add_f64 v[4:5], v[54:55], v[10:11]
	v_fma_f64 v[44:45], v[8:9], -0.5, v[84:85]
	v_fma_f64 v[54:55], v[98:99], -0.5, v[86:87]
	v_add_f64 v[114:115], v[36:37], -v[38:39]
	v_add_f64 v[36:37], v[90:91], v[36:37]
	v_fma_f64 v[118:119], v[100:101], -0.5, v[88:89]
	v_add_f64 v[32:33], v[32:33], -v[34:35]
	v_add_f64 v[6:7], v[12:13], v[14:15]
	v_add_f64 v[88:89], v[62:63], v[18:19]
	;; [unrolled: 1-line block ×3, first 2 shown]
	v_fma_f64 v[8:9], v[48:49], s[0:1], v[40:41]
	v_fma_f64 v[68:69], v[48:49], s[2:3], v[40:41]
	v_fma_f64 v[40:41], v[92:93], -0.5, v[90:91]
	v_fma_f64 v[10:11], v[52:53], s[2:3], v[42:43]
	v_fma_f64 v[70:71], v[52:53], s[0:1], v[42:43]
	;; [unrolled: 1-line block ×6, first 2 shown]
	v_add_f64 v[90:91], v[20:21], v[22:23]
	v_fma_f64 v[92:93], v[96:97], s[0:1], v[94:95]
	v_fma_f64 v[96:97], v[96:97], s[2:3], v[94:95]
	;; [unrolled: 1-line block ×4, first 2 shown]
	v_add_f64 v[102:103], v[26:27], v[30:31]
	v_fma_f64 v[104:105], v[106:107], s[0:1], v[44:45]
	v_fma_f64 v[108:109], v[106:107], s[2:3], v[44:45]
	v_fma_f64 v[106:107], v[24:25], s[2:3], v[54:55]
	v_fma_f64 v[110:111], v[24:25], s[0:1], v[54:55]
	v_add_f64 v[112:113], v[112:113], v[34:35]
	v_fma_f64 v[116:117], v[114:115], s[0:1], v[118:119]
	v_fma_f64 v[120:121], v[114:115], s[2:3], v[118:119]
	v_add_f64 v[114:115], v[36:37], v[38:39]
	v_fma_f64 v[118:119], v[32:33], s[2:3], v[40:41]
	v_fma_f64 v[122:123], v[32:33], s[0:1], v[40:41]
	ds_write_b128 v255, v[0:3]
	ds_write_b128 v255, v[8:11] offset:4624
	ds_write_b128 v255, v[68:71] offset:9248
	;; [unrolled: 1-line block ×14, first 2 shown]
	s_and_saveexec_b32 s8, vcc_lo
	s_cbranch_execz .LBB0_9
; %bb.8:
	v_mul_f64 v[0:1], v[158:159], v[72:73]
	v_mul_f64 v[2:3], v[162:163], v[180:181]
	;; [unrolled: 1-line block ×4, first 2 shown]
	v_fma_f64 v[0:1], v[156:157], v[74:75], -v[0:1]
	v_fma_f64 v[2:3], v[160:161], v[182:183], -v[2:3]
	v_fma_f64 v[4:5], v[156:157], v[72:73], v[4:5]
	v_fma_f64 v[6:7], v[160:161], v[180:181], v[6:7]
	v_add_f64 v[14:15], v[78:79], v[0:1]
	v_add_f64 v[8:9], v[0:1], v[2:3]
	v_add_f64 v[16:17], v[0:1], -v[2:3]
	v_add_f64 v[10:11], v[4:5], v[6:7]
	v_add_f64 v[12:13], v[4:5], -v[6:7]
	v_add_f64 v[4:5], v[76:77], v[4:5]
	v_add_f64 v[2:3], v[14:15], v[2:3]
	v_fma_f64 v[8:9], v[8:9], -0.5, v[78:79]
	v_fma_f64 v[18:19], v[10:11], -0.5, v[76:77]
	v_add_f64 v[0:1], v[4:5], v[6:7]
	v_fma_f64 v[6:7], v[12:13], s[0:1], v[8:9]
	v_fma_f64 v[10:11], v[12:13], s[2:3], v[8:9]
	;; [unrolled: 1-line block ×4, first 2 shown]
	ds_write_b128 v255, v[0:3] offset:4080
	ds_write_b128 v255, v[8:11] offset:8704
	;; [unrolled: 1-line block ×3, first 2 shown]
.LBB0_9:
	s_or_b32 exec_lo, exec_lo, s8
	s_waitcnt lgkmcnt(0)
	s_barrier
	buffer_gl0_inv
	ds_read_b128 v[0:3], v255
	ds_read_b128 v[4:7], v255 offset:816
	ds_read_b128 v[8:11], v255 offset:1632
	s_clause 0x2
	buffer_load_dword v12, off, s[60:63], 0 offset:4
	buffer_load_dword v13, off, s[60:63], 0 offset:8
	buffer_load_dword v30, off, s[60:63], 0
	ds_read_b128 v[68:71], v255 offset:2448
	ds_read_b128 v[72:75], v255 offset:3264
	s_clause 0x3
	buffer_load_dword v38, off, s[60:63], 0 offset:12
	buffer_load_dword v39, off, s[60:63], 0 offset:16
	;; [unrolled: 1-line block ×4, first 2 shown]
	s_mov_b32 s0, 0x8b5e3104
	s_mov_b32 s1, 0x3f52e5b8
	s_mul_i32 s3, s5, 0x330
	s_mul_i32 s2, s4, 0x330
	s_waitcnt vmcnt(6)
	v_mov_b32_e32 v28, v12
	s_waitcnt vmcnt(4)
	v_mad_u64_u32 v[14:15], null, s4, v30, 0
	s_waitcnt vmcnt(0) lgkmcnt(4)
	v_mul_f64 v[16:17], v[40:41], v[2:3]
	v_mul_f64 v[18:19], v[40:41], v[0:1]
	s_clause 0x3
	buffer_load_dword v40, off, s[60:63], 0 offset:28
	buffer_load_dword v41, off, s[60:63], 0 offset:32
	;; [unrolled: 1-line block ×4, first 2 shown]
	v_mad_u64_u32 v[12:13], null, s6, v28, 0
	s_mul_hi_u32 s6, s4, 0x330
	s_add_i32 s3, s6, s3
	v_mad_u64_u32 v[28:29], null, s7, v28, v[13:14]
	v_mov_b32_e32 v13, v28
	v_mad_u64_u32 v[29:30], null, s5, v30, v[15:16]
	v_fma_f64 v[0:1], v[38:39], v[0:1], v[16:17]
	v_fma_f64 v[2:3], v[38:39], v[2:3], -v[18:19]
	v_lshlrev_b64 v[12:13], 4, v[12:13]
	v_mov_b32_e32 v15, v29
	v_add_co_u32 v12, vcc_lo, s12, v12
	v_add_co_ci_u32_e32 v13, vcc_lo, s13, v13, vcc_lo
	v_lshlrev_b64 v[14:15], 4, v[14:15]
	v_add_co_u32 v12, vcc_lo, v12, v14
	v_add_co_ci_u32_e32 v13, vcc_lo, v13, v15, vcc_lo
	v_mul_f64 v[0:1], v[0:1], s[0:1]
	v_mul_f64 v[2:3], v[2:3], s[0:1]
	s_waitcnt vmcnt(0) lgkmcnt(3)
	v_mul_f64 v[20:21], v[42:43], v[6:7]
	v_mul_f64 v[22:23], v[42:43], v[4:5]
	s_clause 0x3
	buffer_load_dword v42, off, s[60:63], 0 offset:44
	buffer_load_dword v43, off, s[60:63], 0 offset:48
	;; [unrolled: 1-line block ×4, first 2 shown]
	ds_read_b128 v[76:79], v255 offset:4080
	ds_read_b128 v[80:83], v255 offset:4896
	;; [unrolled: 1-line block ×4, first 2 shown]
	v_fma_f64 v[4:5], v[40:41], v[4:5], v[20:21]
	v_fma_f64 v[6:7], v[40:41], v[6:7], -v[22:23]
	v_mul_f64 v[4:5], v[4:5], s[0:1]
	v_mul_f64 v[6:7], v[6:7], s[0:1]
	s_waitcnt vmcnt(0) lgkmcnt(6)
	v_mul_f64 v[24:25], v[44:45], v[10:11]
	v_mul_f64 v[26:27], v[44:45], v[8:9]
	s_clause 0x3
	buffer_load_dword v44, off, s[60:63], 0 offset:60
	buffer_load_dword v45, off, s[60:63], 0 offset:64
	;; [unrolled: 1-line block ×4, first 2 shown]
	v_fma_f64 v[8:9], v[42:43], v[8:9], v[24:25]
	v_fma_f64 v[10:11], v[42:43], v[10:11], -v[26:27]
	v_mul_f64 v[8:9], v[8:9], s[0:1]
	v_mul_f64 v[10:11], v[10:11], s[0:1]
	s_waitcnt vmcnt(0) lgkmcnt(5)
	v_mul_f64 v[30:31], v[46:47], v[70:71]
	v_mul_f64 v[32:33], v[46:47], v[68:69]
	s_clause 0x7
	buffer_load_dword v46, off, s[60:63], 0 offset:76
	buffer_load_dword v47, off, s[60:63], 0 offset:80
	;; [unrolled: 1-line block ×8, first 2 shown]
	v_fma_f64 v[14:15], v[44:45], v[68:69], v[30:31]
	v_add_co_u32 v30, vcc_lo, v12, s2
	v_add_co_ci_u32_e32 v31, vcc_lo, s3, v13, vcc_lo
	v_fma_f64 v[26:27], v[44:45], v[70:71], -v[32:33]
	s_waitcnt vmcnt(4) lgkmcnt(4)
	v_mul_f64 v[34:35], v[48:49], v[74:75]
	s_waitcnt vmcnt(0) lgkmcnt(3)
	v_mul_f64 v[16:17], v[40:41], v[78:79]
	v_mul_f64 v[18:19], v[40:41], v[76:77]
	s_clause 0x3
	buffer_load_dword v40, off, s[60:63], 0 offset:140
	buffer_load_dword v41, off, s[60:63], 0 offset:144
	;; [unrolled: 1-line block ×4, first 2 shown]
	v_mul_f64 v[36:37], v[48:49], v[72:73]
	s_clause 0x3
	buffer_load_dword v48, off, s[60:63], 0 offset:156
	buffer_load_dword v49, off, s[60:63], 0 offset:160
	;; [unrolled: 1-line block ×4, first 2 shown]
	v_fma_f64 v[32:33], v[46:47], v[72:73], v[34:35]
	v_fma_f64 v[16:17], v[38:39], v[76:77], v[16:17]
	v_fma_f64 v[18:19], v[38:39], v[78:79], -v[18:19]
	v_fma_f64 v[34:35], v[46:47], v[74:75], -v[36:37]
	v_add_co_u32 v36, vcc_lo, v30, s2
	v_add_co_ci_u32_e32 v37, vcc_lo, s3, v31, vcc_lo
	global_store_dwordx4 v[12:13], v[0:3], off
	global_store_dwordx4 v[30:31], v[4:7], off
	;; [unrolled: 1-line block ×3, first 2 shown]
	ds_read_b128 v[4:7], v255 offset:7344
	v_mul_f64 v[0:1], v[14:15], s[0:1]
	v_mul_f64 v[2:3], v[26:27], s[0:1]
	v_add_co_u32 v30, vcc_lo, v36, s2
	v_add_co_ci_u32_e32 v31, vcc_lo, s3, v37, vcc_lo
	v_mul_f64 v[8:9], v[32:33], s[0:1]
	v_mul_f64 v[12:13], v[16:17], s[0:1]
	;; [unrolled: 1-line block ×4, first 2 shown]
	v_add_co_u32 v34, vcc_lo, v30, s2
	v_add_co_ci_u32_e32 v35, vcc_lo, s3, v31, vcc_lo
	v_add_co_u32 v36, vcc_lo, v34, s2
	v_add_co_ci_u32_e32 v37, vcc_lo, s3, v35, vcc_lo
	;; [unrolled: 2-line block ×3, first 2 shown]
	s_waitcnt vmcnt(4) lgkmcnt(3)
	v_mul_f64 v[20:21], v[42:43], v[82:83]
	v_mul_f64 v[22:23], v[42:43], v[80:81]
	s_waitcnt vmcnt(0) lgkmcnt(2)
	v_mul_f64 v[24:25], v[50:51], v[86:87]
	v_mul_f64 v[28:29], v[50:51], v[84:85]
	v_fma_f64 v[20:21], v[40:41], v[80:81], v[20:21]
	v_fma_f64 v[22:23], v[40:41], v[82:83], -v[22:23]
	s_clause 0x3
	buffer_load_dword v40, off, s[60:63], 0 offset:204
	buffer_load_dword v41, off, s[60:63], 0 offset:208
	;; [unrolled: 1-line block ×4, first 2 shown]
	v_fma_f64 v[24:25], v[48:49], v[84:85], v[24:25]
	v_fma_f64 v[28:29], v[48:49], v[86:87], -v[28:29]
	v_mul_f64 v[16:17], v[20:21], s[0:1]
	v_mul_f64 v[18:19], v[22:23], s[0:1]
	ds_read_b128 v[20:23], v255 offset:8160
	s_clause 0x3
	buffer_load_dword v46, off, s[60:63], 0 offset:108
	buffer_load_dword v47, off, s[60:63], 0 offset:112
	;; [unrolled: 1-line block ×4, first 2 shown]
	global_store_dwordx4 v[30:31], v[0:3], off
	global_store_dwordx4 v[34:35], v[8:11], off
	ds_read_b128 v[0:3], v255 offset:8976
	global_store_dwordx4 v[36:37], v[12:15], off
	global_store_dwordx4 v[38:39], v[16:19], off
	s_clause 0x3
	buffer_load_dword v52, off, s[60:63], 0 offset:124
	buffer_load_dword v53, off, s[60:63], 0 offset:128
	;; [unrolled: 1-line block ×4, first 2 shown]
	ds_read_b128 v[12:15], v255 offset:9792
	v_mul_f64 v[8:9], v[24:25], s[0:1]
	v_mul_f64 v[10:11], v[28:29], s[0:1]
	v_add_co_u32 v38, vcc_lo, v38, s2
	v_add_co_ci_u32_e32 v39, vcc_lo, s3, v39, vcc_lo
	s_waitcnt vmcnt(8) lgkmcnt(4)
	v_mul_f64 v[26:27], v[42:43], v[90:91]
	v_mul_f64 v[32:33], v[42:43], v[88:89]
	v_fma_f64 v[26:27], v[40:41], v[88:89], v[26:27]
	v_fma_f64 v[40:41], v[40:41], v[90:91], -v[32:33]
	ds_read_b128 v[16:19], v255 offset:10608
	ds_read_b128 v[30:33], v255 offset:11424
	;; [unrolled: 1-line block ×4, first 2 shown]
	s_clause 0x3
	buffer_load_dword v72, off, s[60:63], 0 offset:172
	buffer_load_dword v73, off, s[60:63], 0 offset:176
	;; [unrolled: 1-line block ×4, first 2 shown]
	s_waitcnt vmcnt(8) lgkmcnt(7)
	v_mul_f64 v[42:43], v[48:49], v[6:7]
	v_mul_f64 v[44:45], v[48:49], v[4:5]
	s_waitcnt vmcnt(4) lgkmcnt(6)
	v_mul_f64 v[24:25], v[54:55], v[22:23]
	v_mul_f64 v[48:49], v[26:27], s[0:1]
	;; [unrolled: 1-line block ×4, first 2 shown]
	s_waitcnt lgkmcnt(0)
	v_mul_f64 v[60:61], v[66:67], v[70:71]
	v_mul_f64 v[62:63], v[66:67], v[68:69]
	v_fma_f64 v[4:5], v[46:47], v[4:5], v[42:43]
	v_fma_f64 v[6:7], v[46:47], v[6:7], -v[44:45]
	v_add_co_u32 v42, vcc_lo, v38, s2
	v_add_co_ci_u32_e32 v43, vcc_lo, s3, v39, vcc_lo
	v_fma_f64 v[20:21], v[52:53], v[20:21], v[24:25]
	v_fma_f64 v[22:23], v[52:53], v[22:23], -v[28:29]
	v_mul_f64 v[4:5], v[4:5], s[0:1]
	v_mul_f64 v[6:7], v[6:7], s[0:1]
	s_waitcnt vmcnt(0)
	v_mul_f64 v[26:27], v[74:75], v[2:3]
	v_mul_f64 v[40:41], v[74:75], v[0:1]
	s_clause 0x3
	buffer_load_dword v74, off, s[60:63], 0 offset:188
	buffer_load_dword v75, off, s[60:63], 0 offset:192
	;; [unrolled: 1-line block ×4, first 2 shown]
	s_waitcnt vmcnt(0)
	v_mul_f64 v[44:45], v[76:77], v[14:15]
	v_mul_f64 v[46:47], v[76:77], v[12:13]
	s_clause 0x3
	buffer_load_dword v76, off, s[60:63], 0 offset:220
	buffer_load_dword v77, off, s[60:63], 0 offset:224
	;; [unrolled: 1-line block ×4, first 2 shown]
	v_fma_f64 v[12:13], v[74:75], v[12:13], v[44:45]
	v_fma_f64 v[14:15], v[74:75], v[14:15], -v[46:47]
	v_mul_f64 v[12:13], v[12:13], s[0:1]
	v_mul_f64 v[14:15], v[14:15], s[0:1]
	s_waitcnt vmcnt(0)
	v_mul_f64 v[24:25], v[78:79], v[18:19]
	v_mul_f64 v[28:29], v[78:79], v[16:17]
	s_clause 0x3
	buffer_load_dword v78, off, s[60:63], 0 offset:236
	buffer_load_dword v79, off, s[60:63], 0 offset:240
	;; [unrolled: 1-line block ×4, first 2 shown]
	v_fma_f64 v[16:17], v[76:77], v[16:17], v[24:25]
	v_fma_f64 v[18:19], v[76:77], v[18:19], -v[28:29]
	v_fma_f64 v[28:29], v[64:65], v[68:69], v[60:61]
	v_mul_f64 v[16:17], v[16:17], s[0:1]
	v_mul_f64 v[18:19], v[18:19], s[0:1]
	;; [unrolled: 1-line block ×3, first 2 shown]
	s_waitcnt vmcnt(0)
	v_mul_f64 v[52:53], v[80:81], v[32:33]
	v_mul_f64 v[54:55], v[80:81], v[30:31]
	s_clause 0x3
	buffer_load_dword v80, off, s[60:63], 0 offset:252
	buffer_load_dword v81, off, s[60:63], 0 offset:256
	;; [unrolled: 1-line block ×4, first 2 shown]
	global_store_dwordx4 v[38:39], v[8:11], off
	global_store_dwordx4 v[42:43], v[48:51], off
	v_fma_f64 v[8:9], v[72:73], v[0:1], v[26:27]
	v_fma_f64 v[10:11], v[72:73], v[2:3], -v[40:41]
	v_mul_f64 v[0:1], v[20:21], s[0:1]
	v_mul_f64 v[2:3], v[22:23], s[0:1]
	v_add_co_u32 v38, vcc_lo, v42, s2
	v_add_co_ci_u32_e32 v39, vcc_lo, s3, v43, vcc_lo
	global_store_dwordx4 v[38:39], v[4:7], off
	v_fma_f64 v[20:21], v[78:79], v[30:31], v[52:53]
	v_fma_f64 v[22:23], v[78:79], v[32:33], -v[54:55]
	v_fma_f64 v[30:31], v[64:65], v[70:71], -v[62:63]
	v_add_co_u32 v32, vcc_lo, v38, s2
	v_add_co_ci_u32_e32 v33, vcc_lo, s3, v39, vcc_lo
	v_mul_f64 v[8:9], v[8:9], s[0:1]
	v_mul_f64 v[10:11], v[10:11], s[0:1]
	global_store_dwordx4 v[32:33], v[0:3], off
	v_mul_f64 v[20:21], v[20:21], s[0:1]
	v_mul_f64 v[22:23], v[22:23], s[0:1]
	;; [unrolled: 1-line block ×3, first 2 shown]
	s_waitcnt vmcnt(0)
	v_mul_f64 v[56:57], v[82:83], v[36:37]
	v_mul_f64 v[58:59], v[82:83], v[34:35]
	v_fma_f64 v[24:25], v[80:81], v[34:35], v[56:57]
	v_fma_f64 v[26:27], v[80:81], v[36:37], -v[58:59]
	v_add_co_u32 v34, vcc_lo, v32, s2
	v_add_co_ci_u32_e32 v35, vcc_lo, s3, v33, vcc_lo
	v_add_co_u32 v36, vcc_lo, v34, s2
	v_add_co_ci_u32_e32 v37, vcc_lo, s3, v35, vcc_lo
	global_store_dwordx4 v[34:35], v[8:11], off
	v_add_co_u32 v40, vcc_lo, v36, s2
	v_add_co_ci_u32_e32 v41, vcc_lo, s3, v37, vcc_lo
	v_add_co_u32 v4, vcc_lo, v40, s2
	v_add_co_ci_u32_e32 v5, vcc_lo, s3, v41, vcc_lo
	v_mul_f64 v[24:25], v[24:25], s[0:1]
	v_mul_f64 v[26:27], v[26:27], s[0:1]
	v_add_co_u32 v0, vcc_lo, v4, s2
	v_add_co_ci_u32_e32 v1, vcc_lo, s3, v5, vcc_lo
	v_add_co_u32 v2, vcc_lo, v0, s2
	v_add_co_ci_u32_e32 v3, vcc_lo, s3, v1, vcc_lo
	global_store_dwordx4 v[36:37], v[12:15], off
	global_store_dwordx4 v[40:41], v[16:19], off
	;; [unrolled: 1-line block ×5, first 2 shown]
.LBB0_10:
	s_endpgm
	.section	.rodata,"a",@progbits
	.p2align	6, 0x0
	.amdhsa_kernel bluestein_single_fwd_len867_dim1_dp_op_CI_CI
		.amdhsa_group_segment_fixed_size 13872
		.amdhsa_private_segment_fixed_size 272
		.amdhsa_kernarg_size 104
		.amdhsa_user_sgpr_count 6
		.amdhsa_user_sgpr_private_segment_buffer 1
		.amdhsa_user_sgpr_dispatch_ptr 0
		.amdhsa_user_sgpr_queue_ptr 0
		.amdhsa_user_sgpr_kernarg_segment_ptr 1
		.amdhsa_user_sgpr_dispatch_id 0
		.amdhsa_user_sgpr_flat_scratch_init 0
		.amdhsa_user_sgpr_private_segment_size 0
		.amdhsa_wavefront_size32 1
		.amdhsa_uses_dynamic_stack 0
		.amdhsa_system_sgpr_private_segment_wavefront_offset 1
		.amdhsa_system_sgpr_workgroup_id_x 1
		.amdhsa_system_sgpr_workgroup_id_y 0
		.amdhsa_system_sgpr_workgroup_id_z 0
		.amdhsa_system_sgpr_workgroup_info 0
		.amdhsa_system_vgpr_workitem_id 0
		.amdhsa_next_free_vgpr 256
		.amdhsa_next_free_sgpr 64
		.amdhsa_reserve_vcc 1
		.amdhsa_reserve_flat_scratch 0
		.amdhsa_float_round_mode_32 0
		.amdhsa_float_round_mode_16_64 0
		.amdhsa_float_denorm_mode_32 3
		.amdhsa_float_denorm_mode_16_64 3
		.amdhsa_dx10_clamp 1
		.amdhsa_ieee_mode 1
		.amdhsa_fp16_overflow 0
		.amdhsa_workgroup_processor_mode 1
		.amdhsa_memory_ordered 1
		.amdhsa_forward_progress 0
		.amdhsa_shared_vgpr_count 0
		.amdhsa_exception_fp_ieee_invalid_op 0
		.amdhsa_exception_fp_denorm_src 0
		.amdhsa_exception_fp_ieee_div_zero 0
		.amdhsa_exception_fp_ieee_overflow 0
		.amdhsa_exception_fp_ieee_underflow 0
		.amdhsa_exception_fp_ieee_inexact 0
		.amdhsa_exception_int_div_zero 0
	.end_amdhsa_kernel
	.text
.Lfunc_end0:
	.size	bluestein_single_fwd_len867_dim1_dp_op_CI_CI, .Lfunc_end0-bluestein_single_fwd_len867_dim1_dp_op_CI_CI
                                        ; -- End function
	.section	.AMDGPU.csdata,"",@progbits
; Kernel info:
; codeLenInByte = 34636
; NumSgprs: 66
; NumVgprs: 256
; ScratchSize: 272
; MemoryBound: 0
; FloatMode: 240
; IeeeMode: 1
; LDSByteSize: 13872 bytes/workgroup (compile time only)
; SGPRBlocks: 8
; VGPRBlocks: 31
; NumSGPRsForWavesPerEU: 66
; NumVGPRsForWavesPerEU: 256
; Occupancy: 4
; WaveLimiterHint : 1
; COMPUTE_PGM_RSRC2:SCRATCH_EN: 1
; COMPUTE_PGM_RSRC2:USER_SGPR: 6
; COMPUTE_PGM_RSRC2:TRAP_HANDLER: 0
; COMPUTE_PGM_RSRC2:TGID_X_EN: 1
; COMPUTE_PGM_RSRC2:TGID_Y_EN: 0
; COMPUTE_PGM_RSRC2:TGID_Z_EN: 0
; COMPUTE_PGM_RSRC2:TIDIG_COMP_CNT: 0
	.text
	.p2alignl 6, 3214868480
	.fill 48, 4, 3214868480
	.type	__hip_cuid_f6c75371f6fc0d25,@object ; @__hip_cuid_f6c75371f6fc0d25
	.section	.bss,"aw",@nobits
	.globl	__hip_cuid_f6c75371f6fc0d25
__hip_cuid_f6c75371f6fc0d25:
	.byte	0                               ; 0x0
	.size	__hip_cuid_f6c75371f6fc0d25, 1

	.ident	"AMD clang version 19.0.0git (https://github.com/RadeonOpenCompute/llvm-project roc-6.4.0 25133 c7fe45cf4b819c5991fe208aaa96edf142730f1d)"
	.section	".note.GNU-stack","",@progbits
	.addrsig
	.addrsig_sym __hip_cuid_f6c75371f6fc0d25
	.amdgpu_metadata
---
amdhsa.kernels:
  - .args:
      - .actual_access:  read_only
        .address_space:  global
        .offset:         0
        .size:           8
        .value_kind:     global_buffer
      - .actual_access:  read_only
        .address_space:  global
        .offset:         8
        .size:           8
        .value_kind:     global_buffer
      - .actual_access:  read_only
        .address_space:  global
        .offset:         16
        .size:           8
        .value_kind:     global_buffer
      - .actual_access:  read_only
        .address_space:  global
        .offset:         24
        .size:           8
        .value_kind:     global_buffer
      - .actual_access:  read_only
        .address_space:  global
        .offset:         32
        .size:           8
        .value_kind:     global_buffer
      - .offset:         40
        .size:           8
        .value_kind:     by_value
      - .address_space:  global
        .offset:         48
        .size:           8
        .value_kind:     global_buffer
      - .address_space:  global
        .offset:         56
        .size:           8
        .value_kind:     global_buffer
      - .address_space:  global
        .offset:         64
        .size:           8
        .value_kind:     global_buffer
      - .address_space:  global
        .offset:         72
        .size:           8
        .value_kind:     global_buffer
      - .offset:         80
        .size:           4
        .value_kind:     by_value
      - .address_space:  global
        .offset:         88
        .size:           8
        .value_kind:     global_buffer
      - .address_space:  global
        .offset:         96
        .size:           8
        .value_kind:     global_buffer
    .group_segment_fixed_size: 13872
    .kernarg_segment_align: 8
    .kernarg_segment_size: 104
    .language:       OpenCL C
    .language_version:
      - 2
      - 0
    .max_flat_workgroup_size: 51
    .name:           bluestein_single_fwd_len867_dim1_dp_op_CI_CI
    .private_segment_fixed_size: 272
    .sgpr_count:     66
    .sgpr_spill_count: 0
    .symbol:         bluestein_single_fwd_len867_dim1_dp_op_CI_CI.kd
    .uniform_work_group_size: 1
    .uses_dynamic_stack: false
    .vgpr_count:     256
    .vgpr_spill_count: 67
    .wavefront_size: 32
    .workgroup_processor_mode: 1
amdhsa.target:   amdgcn-amd-amdhsa--gfx1030
amdhsa.version:
  - 1
  - 2
...

	.end_amdgpu_metadata
